;; amdgpu-corpus repo=ROCm/rocBLAS kind=compiled arch=gfx1250 opt=O3
	.amdgcn_target "amdgcn-amd-amdhsa--gfx1250"
	.amdhsa_code_object_version 6
	.section	.text._ZL31rocblas_geam_zero_matrix_deviceILi16ELi16EPfEviiT1_llli,"axG",@progbits,_ZL31rocblas_geam_zero_matrix_deviceILi16ELi16EPfEviiT1_llli,comdat
	.globl	_ZL31rocblas_geam_zero_matrix_deviceILi16ELi16EPfEviiT1_llli ; -- Begin function _ZL31rocblas_geam_zero_matrix_deviceILi16ELi16EPfEviiT1_llli
	.p2align	8
	.type	_ZL31rocblas_geam_zero_matrix_deviceILi16ELi16EPfEviiT1_llli,@function
_ZL31rocblas_geam_zero_matrix_deviceILi16ELi16EPfEviiT1_llli: ; @_ZL31rocblas_geam_zero_matrix_deviceILi16ELi16EPfEviiT1_llli
; %bb.0:
	s_load_b32 s12, s[0:1], 0x28
	s_bfe_u32 s2, ttmp6, 0x40014
	s_lshr_b32 s3, ttmp7, 16
	s_add_co_i32 s2, s2, 1
	s_bfe_u32 s4, ttmp6, 0x40008
	s_mul_i32 s2, s3, s2
	s_getreg_b32 s13, hwreg(HW_REG_IB_STS2, 6, 4)
	s_add_co_i32 s4, s4, s2
	s_cmp_eq_u32 s13, 0
	s_cselect_b32 s2, s3, s4
	s_mov_b32 s3, 0
	s_wait_kmcnt 0x0
	s_cmp_ge_u32 s2, s12
	s_cbranch_scc1 .LBB0_5
; %bb.1:
	s_load_b64 s[14:15], s[0:1], 0x0
	s_bfe_u32 s18, ttmp6, 0x4000c
	s_delay_alu instid0(SALU_CYCLE_1) | instskip(SKIP_2) | instid1(SALU_CYCLE_1)
	s_add_co_i32 s18, s18, 1
	s_wait_kmcnt 0x0
	s_add_co_i32 s4, s14, -1
	s_ashr_i32 s5, s4, 31
	s_delay_alu instid0(SALU_CYCLE_1) | instskip(NEXT) | instid1(SALU_CYCLE_1)
	s_lshr_b32 s5, s5, 28
	s_add_co_i32 s4, s4, s5
	s_delay_alu instid0(SALU_CYCLE_1) | instskip(NEXT) | instid1(SALU_CYCLE_1)
	s_ashr_i32 s16, s4, 4
	s_add_co_i32 s17, s16, 1
	s_delay_alu instid0(SALU_CYCLE_1) | instskip(NEXT) | instid1(SALU_CYCLE_3)
	s_cvt_f32_u32 s4, s17
	v_rcp_iflag_f32_e32 v1, s4
	s_load_b256 s[4:11], s[0:1], 0x8
	s_wait_xcnt 0x0
	s_and_b32 s1, ttmp6, 15
	v_nop
	s_delay_alu instid0(TRANS32_DEP_1) | instskip(SKIP_3) | instid1(SALU_CYCLE_3)
	v_readfirstlane_b32 s0, v1
	v_bfe_u32 v1, v0, 10, 10
	v_and_b32_e32 v0, 0x3ff, v0
	s_mul_f32 s0, s0, 0x4f7ffffe
	s_cvt_u32_f32 s19, s0
	s_not_b32 s0, s16
	s_mul_i32 s16, ttmp9, s18
	s_delay_alu instid0(SALU_CYCLE_1) | instskip(SKIP_1) | instid1(SALU_CYCLE_1)
	s_add_co_i32 s16, s1, s16
	s_mul_i32 s0, s0, s19
	s_mul_hi_u32 s18, s19, s0
	s_wait_kmcnt 0x0
	s_lshl_b64 s[0:1], s[6:7], 2
	s_add_co_i32 s19, s19, s18
	s_cmp_eq_u32 s13, 0
	s_add_nc_u64 s[0:1], s[4:5], s[0:1]
	s_cselect_b32 s6, ttmp9, s16
	s_delay_alu instid0(SALU_CYCLE_1) | instskip(NEXT) | instid1(SALU_CYCLE_1)
	s_mul_hi_u32 s7, s6, s19
	s_mul_i32 s13, s7, s17
	s_add_co_i32 s16, s7, 1
	s_sub_co_i32 s13, s6, s13
	s_delay_alu instid0(SALU_CYCLE_1)
	s_sub_co_i32 s18, s13, s17
	s_cmp_ge_u32 s13, s17
	s_cselect_b32 s7, s16, s7
	s_cselect_b32 s13, s18, s13
	s_add_co_i32 s16, s7, 1
	s_cmp_ge_u32 s13, s17
	s_cselect_b32 s7, s16, s7
	s_delay_alu instid0(SALU_CYCLE_1) | instskip(SKIP_1) | instid1(SALU_CYCLE_1)
	v_lshl_add_u32 v2, s7, 4, v1
	s_mul_i32 s7, s7, s17
	s_sub_co_i32 s6, s6, s7
	s_delay_alu instid0(SALU_CYCLE_1) | instskip(NEXT) | instid1(VALU_DEP_2)
	v_lshl_add_u32 v0, s6, 4, v0
	v_ashrrev_i32_e32 v3, 31, v2
	v_cmp_gt_i32_e32 vcc_lo, s15, v2
	s_delay_alu instid0(VALU_DEP_3) | instskip(NEXT) | instid1(VALU_DEP_3)
	v_ashrrev_i32_e32 v1, 31, v0
	v_mul_u64_e32 v[4:5], s[8:9], v[2:3]
	v_mov_b32_e32 v2, 0
	s_delay_alu instid0(VALU_DEP_2) | instskip(SKIP_1) | instid1(VALU_DEP_2)
	v_lshl_add_u64 v[4:5], v[4:5], 2, s[0:1]
	v_cmp_gt_i32_e64 s0, s14, v0
	v_lshl_add_u64 v[0:1], v[0:1], 2, v[4:5]
	s_and_b32 s0, s0, vcc_lo
	s_branch .LBB0_3
.LBB0_2:                                ;   in Loop: Header=BB0_3 Depth=1
	s_wait_xcnt 0x0
	s_or_b32 exec_lo, exec_lo, s1
	s_add_co_i32 s2, s2, 0x10000
	s_delay_alu instid0(SALU_CYCLE_1)
	s_cmp_lt_u32 s2, s12
	s_cbranch_scc0 .LBB0_5
.LBB0_3:                                ; =>This Inner Loop Header: Depth=1
	s_and_saveexec_b32 s1, s0
	s_cbranch_execz .LBB0_2
; %bb.4:                                ;   in Loop: Header=BB0_3 Depth=1
	s_mul_u64 s[4:5], s[10:11], s[2:3]
	s_delay_alu instid0(SALU_CYCLE_1)
	v_lshl_add_u64 v[4:5], s[4:5], 2, v[0:1]
	global_store_b32 v[4:5], v2, off
	s_branch .LBB0_2
.LBB0_5:
	s_endpgm
	.section	.rodata,"a",@progbits
	.p2align	6, 0x0
	.amdhsa_kernel _ZL31rocblas_geam_zero_matrix_deviceILi16ELi16EPfEviiT1_llli
		.amdhsa_group_segment_fixed_size 0
		.amdhsa_private_segment_fixed_size 0
		.amdhsa_kernarg_size 44
		.amdhsa_user_sgpr_count 2
		.amdhsa_user_sgpr_dispatch_ptr 0
		.amdhsa_user_sgpr_queue_ptr 0
		.amdhsa_user_sgpr_kernarg_segment_ptr 1
		.amdhsa_user_sgpr_dispatch_id 0
		.amdhsa_user_sgpr_kernarg_preload_length 0
		.amdhsa_user_sgpr_kernarg_preload_offset 0
		.amdhsa_user_sgpr_private_segment_size 0
		.amdhsa_wavefront_size32 1
		.amdhsa_uses_dynamic_stack 0
		.amdhsa_enable_private_segment 0
		.amdhsa_system_sgpr_workgroup_id_x 1
		.amdhsa_system_sgpr_workgroup_id_y 0
		.amdhsa_system_sgpr_workgroup_id_z 1
		.amdhsa_system_sgpr_workgroup_info 0
		.amdhsa_system_vgpr_workitem_id 1
		.amdhsa_next_free_vgpr 6
		.amdhsa_next_free_sgpr 20
		.amdhsa_named_barrier_count 0
		.amdhsa_reserve_vcc 1
		.amdhsa_float_round_mode_32 0
		.amdhsa_float_round_mode_16_64 0
		.amdhsa_float_denorm_mode_32 3
		.amdhsa_float_denorm_mode_16_64 3
		.amdhsa_fp16_overflow 0
		.amdhsa_memory_ordered 1
		.amdhsa_forward_progress 1
		.amdhsa_inst_pref_size 4
		.amdhsa_round_robin_scheduling 0
		.amdhsa_exception_fp_ieee_invalid_op 0
		.amdhsa_exception_fp_denorm_src 0
		.amdhsa_exception_fp_ieee_div_zero 0
		.amdhsa_exception_fp_ieee_overflow 0
		.amdhsa_exception_fp_ieee_underflow 0
		.amdhsa_exception_fp_ieee_inexact 0
		.amdhsa_exception_int_div_zero 0
	.end_amdhsa_kernel
	.section	.text._ZL31rocblas_geam_zero_matrix_deviceILi16ELi16EPfEviiT1_llli,"axG",@progbits,_ZL31rocblas_geam_zero_matrix_deviceILi16ELi16EPfEviiT1_llli,comdat
.Lfunc_end0:
	.size	_ZL31rocblas_geam_zero_matrix_deviceILi16ELi16EPfEviiT1_llli, .Lfunc_end0-_ZL31rocblas_geam_zero_matrix_deviceILi16ELi16EPfEviiT1_llli
                                        ; -- End function
	.set _ZL31rocblas_geam_zero_matrix_deviceILi16ELi16EPfEviiT1_llli.num_vgpr, 6
	.set _ZL31rocblas_geam_zero_matrix_deviceILi16ELi16EPfEviiT1_llli.num_agpr, 0
	.set _ZL31rocblas_geam_zero_matrix_deviceILi16ELi16EPfEviiT1_llli.numbered_sgpr, 20
	.set _ZL31rocblas_geam_zero_matrix_deviceILi16ELi16EPfEviiT1_llli.num_named_barrier, 0
	.set _ZL31rocblas_geam_zero_matrix_deviceILi16ELi16EPfEviiT1_llli.private_seg_size, 0
	.set _ZL31rocblas_geam_zero_matrix_deviceILi16ELi16EPfEviiT1_llli.uses_vcc, 1
	.set _ZL31rocblas_geam_zero_matrix_deviceILi16ELi16EPfEviiT1_llli.uses_flat_scratch, 0
	.set _ZL31rocblas_geam_zero_matrix_deviceILi16ELi16EPfEviiT1_llli.has_dyn_sized_stack, 0
	.set _ZL31rocblas_geam_zero_matrix_deviceILi16ELi16EPfEviiT1_llli.has_recursion, 0
	.set _ZL31rocblas_geam_zero_matrix_deviceILi16ELi16EPfEviiT1_llli.has_indirect_call, 0
	.section	.AMDGPU.csdata,"",@progbits
; Kernel info:
; codeLenInByte = 460
; TotalNumSgprs: 22
; NumVgprs: 6
; ScratchSize: 0
; MemoryBound: 0
; FloatMode: 240
; IeeeMode: 1
; LDSByteSize: 0 bytes/workgroup (compile time only)
; SGPRBlocks: 0
; VGPRBlocks: 0
; NumSGPRsForWavesPerEU: 22
; NumVGPRsForWavesPerEU: 6
; NamedBarCnt: 0
; Occupancy: 16
; WaveLimiterHint : 0
; COMPUTE_PGM_RSRC2:SCRATCH_EN: 0
; COMPUTE_PGM_RSRC2:USER_SGPR: 2
; COMPUTE_PGM_RSRC2:TRAP_HANDLER: 0
; COMPUTE_PGM_RSRC2:TGID_X_EN: 1
; COMPUTE_PGM_RSRC2:TGID_Y_EN: 0
; COMPUTE_PGM_RSRC2:TGID_Z_EN: 1
; COMPUTE_PGM_RSRC2:TIDIG_COMP_CNT: 1
	.section	.text._ZL27rocblas_geam_inplace_deviceILi16ELi16EfPKfPfEv18rocblas_operation_iiT1_S4_T2_lllT3_llli,"axG",@progbits,_ZL27rocblas_geam_inplace_deviceILi16ELi16EfPKfPfEv18rocblas_operation_iiT1_S4_T2_lllT3_llli,comdat
	.globl	_ZL27rocblas_geam_inplace_deviceILi16ELi16EfPKfPfEv18rocblas_operation_iiT1_S4_T2_lllT3_llli ; -- Begin function _ZL27rocblas_geam_inplace_deviceILi16ELi16EfPKfPfEv18rocblas_operation_iiT1_S4_T2_lllT3_llli
	.p2align	8
	.type	_ZL27rocblas_geam_inplace_deviceILi16ELi16EfPKfPfEv18rocblas_operation_iiT1_S4_T2_lllT3_llli,@function
_ZL27rocblas_geam_inplace_deviceILi16ELi16EfPKfPfEv18rocblas_operation_iiT1_S4_T2_lllT3_llli: ; @_ZL27rocblas_geam_inplace_deviceILi16ELi16EfPKfPfEv18rocblas_operation_iiT1_S4_T2_lllT3_llli
; %bb.0:
	s_load_b32 s24, s[0:1], 0x58
	s_bfe_u32 s2, ttmp6, 0x40014
	s_lshr_b32 s3, ttmp7, 16
	s_add_co_i32 s2, s2, 1
	s_bfe_u32 s4, ttmp6, 0x40008
	s_mul_i32 s2, s3, s2
	s_getreg_b32 s26, hwreg(HW_REG_IB_STS2, 6, 4)
	s_add_co_i32 s4, s4, s2
	s_cmp_eq_u32 s26, 0
	s_cselect_b32 s2, s3, s4
	s_mov_b32 s3, 0
	s_wait_kmcnt 0x0
	s_cmp_ge_u32 s2, s24
	s_cbranch_scc1 .LBB1_15
; %bb.1:
	s_clause 0x1
	s_load_b128 s[20:23], s[0:1], 0x0
	s_load_b32 s25, s[0:1], 0x10
	s_and_b32 s28, ttmp6, 15
	s_wait_kmcnt 0x0
	s_add_co_i32 s4, s21, -1
	s_delay_alu instid0(SALU_CYCLE_1) | instskip(NEXT) | instid1(SALU_CYCLE_1)
	s_ashr_i32 s5, s4, 31
	s_lshr_b32 s5, s5, 28
	s_delay_alu instid0(SALU_CYCLE_1) | instskip(NEXT) | instid1(SALU_CYCLE_1)
	s_add_co_i32 s4, s4, s5
	s_ashr_i32 s27, s4, 4
	s_delay_alu instid0(SALU_CYCLE_1) | instskip(SKIP_2) | instid1(SALU_CYCLE_3)
	s_add_co_i32 s30, s27, 1
	s_not_b32 s27, s27
	s_cvt_f32_u32 s4, s30
	v_rcp_iflag_f32_e32 v1, s4
	s_load_b512 s[4:19], s[0:1], 0x18
	s_wait_xcnt 0x0
	s_bfe_u32 s1, ttmp6, 0x4000c
	s_delay_alu instid0(SALU_CYCLE_1) | instskip(NEXT) | instid1(SALU_CYCLE_1)
	s_add_co_i32 s1, s1, 1
	s_mul_i32 s1, ttmp9, s1
	v_nop
	v_readfirstlane_b32 s0, v1
	s_add_co_i32 s1, s28, s1
	v_bfe_u32 v1, v0, 10, 10
	v_and_b32_e32 v0, 0x3ff, v0
	s_mul_f32 s0, s0, 0x4f7ffffe
	s_delay_alu instid0(SALU_CYCLE_3) | instskip(NEXT) | instid1(SALU_CYCLE_3)
	s_cvt_u32_f32 s0, s0
	s_mul_i32 s27, s27, s0
	s_wait_kmcnt 0x0
	s_lshl_b64 s[14:15], s[14:15], 2
	s_mul_hi_u32 s27, s0, s27
	s_lshl_b64 s[28:29], s[6:7], 2
	s_add_co_i32 s0, s0, s27
	s_cmp_eq_u32 s26, 0
	s_cselect_b32 s1, ttmp9, s1
	s_delay_alu instid0(SALU_CYCLE_1) | instskip(NEXT) | instid1(SALU_CYCLE_1)
	s_mul_hi_u32 s0, s1, s0
	s_mul_i32 s6, s0, s30
	s_add_co_i32 s7, s0, 1
	s_sub_co_i32 s6, s1, s6
	s_delay_alu instid0(SALU_CYCLE_1)
	s_sub_co_i32 s26, s6, s30
	s_cmp_ge_u32 s6, s30
	s_cselect_b32 s0, s7, s0
	s_cselect_b32 s6, s26, s6
	s_add_co_i32 s7, s0, 1
	s_cmp_ge_u32 s6, s30
	s_cselect_b32 s0, s7, s0
	s_delay_alu instid0(SALU_CYCLE_1) | instskip(SKIP_2) | instid1(SALU_CYCLE_1)
	s_mul_i32 s6, s0, s30
	v_lshl_add_u32 v2, s0, 4, v1
	s_sub_co_i32 s1, s1, s6
	v_lshl_add_u32 v4, s1, 4, v0
	s_delay_alu instid0(VALU_DEP_2) | instskip(SKIP_1) | instid1(VALU_DEP_3)
	v_ashrrev_i32_e32 v3, 31, v2
	v_cmp_gt_i32_e32 vcc_lo, s22, v2
	v_ashrrev_i32_e32 v5, 31, v4
	v_cmp_gt_i32_e64 s0, s21, v4
	s_delay_alu instid0(VALU_DEP_4) | instskip(NEXT) | instid1(VALU_DEP_3)
	v_mad_nc_u64_u32 v[6:7], s8, v4, v[2:3]
	v_mad_nc_u64_u32 v[8:9], s8, v2, v[4:5]
	;; [unrolled: 1-line block ×3, first 2 shown]
	s_and_b32 s6, s0, vcc_lo
	s_cmp_neq_f32 s25, 0
	s_add_nc_u64 s[0:1], s[4:5], s[28:29]
	s_cselect_b32 s7, -1, 0
	s_delay_alu instid0(VALU_DEP_3) | instskip(SKIP_2) | instid1(VALU_DEP_3)
	v_mad_u32 v7, s9, v4, v7
	s_cmp_eq_u32 s20, 0x6f
	s_cselect_b32 vcc_lo, -1, 0
	v_mad_u32 v9, s9, v2, v9
	s_delay_alu instid0(VALU_DEP_3) | instskip(SKIP_2) | instid1(VALU_DEP_3)
	v_mad_u32 v1, s17, v2, v1
	s_cmp_neq_f32 s23, 0
	s_cselect_b32 s4, -1, 0
	v_mad_u32 v4, s8, v5, v7
	s_delay_alu instid0(VALU_DEP_3) | instskip(NEXT) | instid1(VALU_DEP_3)
	v_mad_u32 v5, s8, v3, v9
	v_mad_u32 v1, s16, v3, v1
	s_delay_alu instid0(VALU_DEP_2) | instskip(NEXT) | instid1(VALU_DEP_1)
	v_dual_cndmask_b32 v5, v4, v5 :: v_dual_cndmask_b32 v4, v6, v8
	v_lshl_add_u64 v[2:3], v[4:5], 2, s[0:1]
	s_add_nc_u64 s[0:1], s[12:13], s[14:15]
	s_branch .LBB1_5
.LBB1_2:                                ;   in Loop: Header=BB1_5 Depth=1
	global_load_b32 v6, v[4:5], off
	s_wait_loadcnt 0x0
	v_mul_f32_e32 v6, s23, v6
.LBB1_3:                                ;   in Loop: Header=BB1_5 Depth=1
	global_store_b32 v[4:5], v6, off
.LBB1_4:                                ;   in Loop: Header=BB1_5 Depth=1
	s_wait_xcnt 0x0
	s_or_b32 exec_lo, exec_lo, s5
	s_add_co_i32 s2, s2, 0x10000
	s_delay_alu instid0(SALU_CYCLE_1)
	s_cmp_lt_u32 s2, s24
	s_cbranch_scc0 .LBB1_15
.LBB1_5:                                ; =>This Inner Loop Header: Depth=1
	s_and_saveexec_b32 s5, s6
	s_cbranch_execz .LBB1_4
; %bb.6:                                ;   in Loop: Header=BB1_5 Depth=1
	s_mul_u64 s[8:9], s[18:19], s[2:3]
	s_and_b32 vcc_lo, exec_lo, s7
	s_lshl_b64 s[8:9], s[8:9], 2
	s_delay_alu instid0(SALU_CYCLE_1) | instskip(NEXT) | instid1(SALU_CYCLE_1)
	s_add_nc_u64 s[8:9], s[0:1], s[8:9]
	v_lshl_add_u64 v[4:5], v[0:1], 2, s[8:9]
	s_cbranch_vccz .LBB1_11
; %bb.7:                                ;   in Loop: Header=BB1_5 Depth=1
	s_mul_u64 s[8:9], s[10:11], s[2:3]
	s_and_b32 vcc_lo, exec_lo, s4
	v_lshl_add_u64 v[6:7], s[8:9], 2, v[2:3]
	global_load_b32 v6, v[6:7], off
	s_wait_loadcnt 0x0
	s_wait_xcnt 0x0
	v_mul_f32_e32 v6, s25, v6
	s_cbranch_vccz .LBB1_14
; %bb.8:                                ;   in Loop: Header=BB1_5 Depth=1
	global_load_b32 v7, v[4:5], off
	s_wait_loadcnt 0x0
	v_fma_f32 v7, s23, v7, v6
	global_store_b32 v[4:5], v7, off
	s_cbranch_execnz .LBB1_10
.LBB1_9:                                ;   in Loop: Header=BB1_5 Depth=1
	global_store_b32 v[4:5], v6, off
.LBB1_10:                               ;   in Loop: Header=BB1_5 Depth=1
	s_cbranch_execnz .LBB1_4
	s_branch .LBB1_12
.LBB1_11:                               ;   in Loop: Header=BB1_5 Depth=1
.LBB1_12:                               ;   in Loop: Header=BB1_5 Depth=1
	s_and_not1_b32 vcc_lo, exec_lo, s4
	s_cbranch_vccz .LBB1_2
; %bb.13:                               ;   in Loop: Header=BB1_5 Depth=1
	s_wait_xcnt 0x0
	v_mov_b32_e32 v6, 0
	s_branch .LBB1_3
.LBB1_14:                               ;   in Loop: Header=BB1_5 Depth=1
	s_branch .LBB1_9
.LBB1_15:
	s_endpgm
	.section	.rodata,"a",@progbits
	.p2align	6, 0x0
	.amdhsa_kernel _ZL27rocblas_geam_inplace_deviceILi16ELi16EfPKfPfEv18rocblas_operation_iiT1_S4_T2_lllT3_llli
		.amdhsa_group_segment_fixed_size 0
		.amdhsa_private_segment_fixed_size 0
		.amdhsa_kernarg_size 92
		.amdhsa_user_sgpr_count 2
		.amdhsa_user_sgpr_dispatch_ptr 0
		.amdhsa_user_sgpr_queue_ptr 0
		.amdhsa_user_sgpr_kernarg_segment_ptr 1
		.amdhsa_user_sgpr_dispatch_id 0
		.amdhsa_user_sgpr_kernarg_preload_length 0
		.amdhsa_user_sgpr_kernarg_preload_offset 0
		.amdhsa_user_sgpr_private_segment_size 0
		.amdhsa_wavefront_size32 1
		.amdhsa_uses_dynamic_stack 0
		.amdhsa_enable_private_segment 0
		.amdhsa_system_sgpr_workgroup_id_x 1
		.amdhsa_system_sgpr_workgroup_id_y 0
		.amdhsa_system_sgpr_workgroup_id_z 1
		.amdhsa_system_sgpr_workgroup_info 0
		.amdhsa_system_vgpr_workitem_id 1
		.amdhsa_next_free_vgpr 10
		.amdhsa_next_free_sgpr 31
		.amdhsa_named_barrier_count 0
		.amdhsa_reserve_vcc 1
		.amdhsa_float_round_mode_32 0
		.amdhsa_float_round_mode_16_64 0
		.amdhsa_float_denorm_mode_32 3
		.amdhsa_float_denorm_mode_16_64 3
		.amdhsa_fp16_overflow 0
		.amdhsa_memory_ordered 1
		.amdhsa_forward_progress 1
		.amdhsa_inst_pref_size 6
		.amdhsa_round_robin_scheduling 0
		.amdhsa_exception_fp_ieee_invalid_op 0
		.amdhsa_exception_fp_denorm_src 0
		.amdhsa_exception_fp_ieee_div_zero 0
		.amdhsa_exception_fp_ieee_overflow 0
		.amdhsa_exception_fp_ieee_underflow 0
		.amdhsa_exception_fp_ieee_inexact 0
		.amdhsa_exception_int_div_zero 0
	.end_amdhsa_kernel
	.section	.text._ZL27rocblas_geam_inplace_deviceILi16ELi16EfPKfPfEv18rocblas_operation_iiT1_S4_T2_lllT3_llli,"axG",@progbits,_ZL27rocblas_geam_inplace_deviceILi16ELi16EfPKfPfEv18rocblas_operation_iiT1_S4_T2_lllT3_llli,comdat
.Lfunc_end1:
	.size	_ZL27rocblas_geam_inplace_deviceILi16ELi16EfPKfPfEv18rocblas_operation_iiT1_S4_T2_lllT3_llli, .Lfunc_end1-_ZL27rocblas_geam_inplace_deviceILi16ELi16EfPKfPfEv18rocblas_operation_iiT1_S4_T2_lllT3_llli
                                        ; -- End function
	.set _ZL27rocblas_geam_inplace_deviceILi16ELi16EfPKfPfEv18rocblas_operation_iiT1_S4_T2_lllT3_llli.num_vgpr, 10
	.set _ZL27rocblas_geam_inplace_deviceILi16ELi16EfPKfPfEv18rocblas_operation_iiT1_S4_T2_lllT3_llli.num_agpr, 0
	.set _ZL27rocblas_geam_inplace_deviceILi16ELi16EfPKfPfEv18rocblas_operation_iiT1_S4_T2_lllT3_llli.numbered_sgpr, 31
	.set _ZL27rocblas_geam_inplace_deviceILi16ELi16EfPKfPfEv18rocblas_operation_iiT1_S4_T2_lllT3_llli.num_named_barrier, 0
	.set _ZL27rocblas_geam_inplace_deviceILi16ELi16EfPKfPfEv18rocblas_operation_iiT1_S4_T2_lllT3_llli.private_seg_size, 0
	.set _ZL27rocblas_geam_inplace_deviceILi16ELi16EfPKfPfEv18rocblas_operation_iiT1_S4_T2_lllT3_llli.uses_vcc, 1
	.set _ZL27rocblas_geam_inplace_deviceILi16ELi16EfPKfPfEv18rocblas_operation_iiT1_S4_T2_lllT3_llli.uses_flat_scratch, 0
	.set _ZL27rocblas_geam_inplace_deviceILi16ELi16EfPKfPfEv18rocblas_operation_iiT1_S4_T2_lllT3_llli.has_dyn_sized_stack, 0
	.set _ZL27rocblas_geam_inplace_deviceILi16ELi16EfPKfPfEv18rocblas_operation_iiT1_S4_T2_lllT3_llli.has_recursion, 0
	.set _ZL27rocblas_geam_inplace_deviceILi16ELi16EfPKfPfEv18rocblas_operation_iiT1_S4_T2_lllT3_llli.has_indirect_call, 0
	.section	.AMDGPU.csdata,"",@progbits
; Kernel info:
; codeLenInByte = 740
; TotalNumSgprs: 33
; NumVgprs: 10
; ScratchSize: 0
; MemoryBound: 0
; FloatMode: 240
; IeeeMode: 1
; LDSByteSize: 0 bytes/workgroup (compile time only)
; SGPRBlocks: 0
; VGPRBlocks: 0
; NumSGPRsForWavesPerEU: 33
; NumVGPRsForWavesPerEU: 10
; NamedBarCnt: 0
; Occupancy: 16
; WaveLimiterHint : 0
; COMPUTE_PGM_RSRC2:SCRATCH_EN: 0
; COMPUTE_PGM_RSRC2:USER_SGPR: 2
; COMPUTE_PGM_RSRC2:TRAP_HANDLER: 0
; COMPUTE_PGM_RSRC2:TGID_X_EN: 1
; COMPUTE_PGM_RSRC2:TGID_Y_EN: 0
; COMPUTE_PGM_RSRC2:TGID_Z_EN: 1
; COMPUTE_PGM_RSRC2:TIDIG_COMP_CNT: 1
	.section	.text._ZL27rocblas_geam_inplace_deviceILi16ELi16EPKfS1_PfEv18rocblas_operation_iiT1_S4_T2_lllT3_llli,"axG",@progbits,_ZL27rocblas_geam_inplace_deviceILi16ELi16EPKfS1_PfEv18rocblas_operation_iiT1_S4_T2_lllT3_llli,comdat
	.globl	_ZL27rocblas_geam_inplace_deviceILi16ELi16EPKfS1_PfEv18rocblas_operation_iiT1_S4_T2_lllT3_llli ; -- Begin function _ZL27rocblas_geam_inplace_deviceILi16ELi16EPKfS1_PfEv18rocblas_operation_iiT1_S4_T2_lllT3_llli
	.p2align	8
	.type	_ZL27rocblas_geam_inplace_deviceILi16ELi16EPKfS1_PfEv18rocblas_operation_iiT1_S4_T2_lllT3_llli,@function
_ZL27rocblas_geam_inplace_deviceILi16ELi16EPKfS1_PfEv18rocblas_operation_iiT1_S4_T2_lllT3_llli: ; @_ZL27rocblas_geam_inplace_deviceILi16ELi16EPKfS1_PfEv18rocblas_operation_iiT1_S4_T2_lllT3_llli
; %bb.0:
	s_load_b32 s27, s[0:1], 0x60
	s_bfe_u32 s2, ttmp6, 0x40014
	s_lshr_b32 s3, ttmp7, 16
	s_add_co_i32 s2, s2, 1
	s_bfe_u32 s4, ttmp6, 0x40008
	s_mul_i32 s2, s3, s2
	s_getreg_b32 s20, hwreg(HW_REG_IB_STS2, 6, 4)
	s_add_co_i32 s4, s4, s2
	s_cmp_eq_u32 s20, 0
	s_cselect_b32 s2, s3, s4
	s_mov_b32 s3, 0
	s_wait_kmcnt 0x0
	s_cmp_ge_u32 s2, s27
	s_cbranch_scc1 .LBB2_15
; %bb.1:
	s_load_b96 s[24:26], s[0:1], 0x0
	s_bfe_u32 s28, ttmp6, 0x4000c
	s_and_b32 s29, ttmp6, 15
	s_add_co_i32 s28, s28, 1
	s_delay_alu instid0(SALU_CYCLE_1) | instskip(NEXT) | instid1(SALU_CYCLE_1)
	s_mul_i32 s28, ttmp9, s28
	s_add_co_i32 s30, s29, s28
	s_wait_kmcnt 0x0
	s_add_co_i32 s4, s25, -1
	s_delay_alu instid0(SALU_CYCLE_1) | instskip(NEXT) | instid1(SALU_CYCLE_1)
	s_ashr_i32 s5, s4, 31
	s_lshr_b32 s5, s5, 28
	s_delay_alu instid0(SALU_CYCLE_1) | instskip(NEXT) | instid1(SALU_CYCLE_1)
	s_add_co_i32 s4, s4, s5
	s_ashr_i32 s21, s4, 4
	s_delay_alu instid0(SALU_CYCLE_1) | instskip(SKIP_2) | instid1(SALU_CYCLE_3)
	s_add_co_i32 s22, s21, 1
	s_not_b32 s21, s21
	s_cvt_f32_u32 s4, s22
	v_rcp_iflag_f32_e32 v1, s4
	s_load_b512 s[4:19], s[0:1], 0x10
	v_nop
	s_delay_alu instid0(TRANS32_DEP_1) | instskip(SKIP_3) | instid1(SALU_CYCLE_3)
	v_readfirstlane_b32 s23, v1
	v_bfe_u32 v1, v0, 10, 10
	v_and_b32_e32 v0, 0x3ff, v0
	s_mul_f32 s23, s23, 0x4f7ffffe
	s_cvt_u32_f32 s23, s23
	s_delay_alu instid0(SALU_CYCLE_3)
	s_mul_i32 s21, s21, s23
	s_wait_kmcnt 0x0
	s_lshl_b64 s[18:19], s[18:19], 2
	s_mul_hi_u32 s21, s23, s21
	s_lshl_b64 s[28:29], s[10:11], 2
	s_add_co_i32 s23, s23, s21
	s_cmp_eq_u32 s20, 0
	s_cselect_b32 s10, ttmp9, s30
	s_delay_alu instid0(SALU_CYCLE_1) | instskip(NEXT) | instid1(SALU_CYCLE_1)
	s_mul_hi_u32 s11, s10, s23
	s_mul_i32 s20, s11, s22
	s_add_co_i32 s21, s11, 1
	s_sub_co_i32 s20, s10, s20
	s_delay_alu instid0(SALU_CYCLE_1)
	s_sub_co_i32 s23, s20, s22
	s_cmp_ge_u32 s20, s22
	s_cselect_b32 s11, s21, s11
	s_cselect_b32 s20, s23, s20
	s_add_co_i32 s21, s11, 1
	s_cmp_ge_u32 s20, s22
	s_cselect_b32 s11, s21, s11
	s_delay_alu instid0(SALU_CYCLE_1)
	s_mul_i32 s30, s11, s22
	s_load_b128 s[20:23], s[0:1], 0x50
	s_wait_xcnt 0x0
	s_sub_co_i32 s0, s10, s30
	v_lshl_add_u32 v2, s11, 4, v1
	v_lshl_add_u32 v4, s0, 4, v0
	s_delay_alu instid0(VALU_DEP_1) | instskip(SKIP_2) | instid1(VALU_DEP_3)
	v_dual_ashrrev_i32 v3, 31, v2 :: v_dual_ashrrev_i32 v5, 31, v4
	v_cmp_gt_i32_e32 vcc_lo, s26, v2
	v_cmp_gt_i32_e64 s0, s25, v4
	v_mad_nc_u64_u32 v[6:7], s12, v4, v[2:3]
	s_delay_alu instid0(VALU_DEP_4)
	v_mad_nc_u64_u32 v[8:9], s12, v2, v[4:5]
	s_and_b32 s10, s0, vcc_lo
	s_cmp_eq_u32 s24, 0x6f
	s_add_nc_u64 s[0:1], s[8:9], s[28:29]
	s_cselect_b32 vcc_lo, -1, 0
	s_wait_kmcnt 0x0
	v_mad_nc_u64_u32 v[0:1], s20, v2, v[4:5]
	s_delay_alu instid0(VALU_DEP_3) | instskip(NEXT) | instid1(VALU_DEP_3)
	v_mad_u32 v7, s13, v4, v7
	v_mad_u32 v9, s13, v2, v9
	s_delay_alu instid0(VALU_DEP_3) | instskip(SKIP_1) | instid1(VALU_DEP_4)
	v_mad_u32 v1, s21, v2, v1
	v_dual_cndmask_b32 v2, v6, v8, vcc_lo :: v_dual_mov_b32 v6, 0
	v_mad_u32 v5, s12, v5, v7
	s_delay_alu instid0(VALU_DEP_4) | instskip(NEXT) | instid1(VALU_DEP_4)
	v_mad_u32 v7, s12, v3, v9
	v_mad_u32 v1, s20, v3, v1
	s_delay_alu instid0(VALU_DEP_2) | instskip(NEXT) | instid1(VALU_DEP_1)
	v_cndmask_b32_e32 v3, v5, v7, vcc_lo
	v_lshl_add_u64 v[2:3], v[2:3], 2, s[0:1]
	s_add_nc_u64 s[0:1], s[16:17], s[18:19]
	s_branch .LBB2_5
.LBB2_2:                                ;   in Loop: Header=BB2_5 Depth=1
	global_load_b32 v7, v[4:5], off
	s_wait_loadcnt 0x0
	v_mul_f32_e32 v7, s9, v7
.LBB2_3:                                ;   in Loop: Header=BB2_5 Depth=1
	global_store_b32 v[4:5], v7, off
.LBB2_4:                                ;   in Loop: Header=BB2_5 Depth=1
	s_wait_xcnt 0x0
	s_or_b32 exec_lo, exec_lo, s8
	s_add_co_i32 s2, s2, 0x10000
	s_delay_alu instid0(SALU_CYCLE_1)
	s_cmp_lt_u32 s2, s27
	s_cbranch_scc0 .LBB2_15
.LBB2_5:                                ; =>This Inner Loop Header: Depth=1
	s_and_saveexec_b32 s8, s10
	s_cbranch_execz .LBB2_4
; %bb.6:                                ;   in Loop: Header=BB2_5 Depth=1
	s_clause 0x1
	global_load_b32 v7, v6, s[6:7]
	global_load_b32 v4, v6, s[4:5]
	s_mul_u64 s[12:13], s[22:23], s[2:3]
	s_delay_alu instid0(SALU_CYCLE_1) | instskip(NEXT) | instid1(SALU_CYCLE_1)
	s_lshl_b64 s[12:13], s[12:13], 2
	s_add_nc_u64 s[12:13], s[0:1], s[12:13]
	s_wait_loadcnt 0x1
	v_cmp_neq_f32_e32 vcc_lo, 0, v7
	s_wait_loadcnt 0x0
	v_readfirstlane_b32 s9, v4
	v_lshl_add_u64 v[4:5], v[0:1], 2, s[12:13]
	s_cbranch_vccz .LBB2_11
; %bb.7:                                ;   in Loop: Header=BB2_5 Depth=1
	s_mul_u64 s[12:13], s[14:15], s[2:3]
	s_cmp_neq_f32 s9, 0
	v_lshl_add_u64 v[8:9], s[12:13], 2, v[2:3]
	global_load_b32 v8, v[8:9], off
	s_wait_loadcnt 0x0
	v_mul_f32_e32 v7, v7, v8
	s_cbranch_scc0 .LBB2_14
; %bb.8:                                ;   in Loop: Header=BB2_5 Depth=1
	global_load_b32 v8, v[4:5], off
	s_wait_loadcnt 0x0
	v_fma_f32 v8, s9, v8, v7
	global_store_b32 v[4:5], v8, off
	s_cbranch_execnz .LBB2_10
.LBB2_9:                                ;   in Loop: Header=BB2_5 Depth=1
	global_store_b32 v[4:5], v7, off
.LBB2_10:                               ;   in Loop: Header=BB2_5 Depth=1
	s_cbranch_execnz .LBB2_4
	s_branch .LBB2_12
.LBB2_11:                               ;   in Loop: Header=BB2_5 Depth=1
.LBB2_12:                               ;   in Loop: Header=BB2_5 Depth=1
	s_cmp_eq_f32 s9, 0
	s_cbranch_scc0 .LBB2_2
; %bb.13:                               ;   in Loop: Header=BB2_5 Depth=1
	s_wait_xcnt 0x0
	v_mov_b32_e32 v7, 0
	s_branch .LBB2_3
.LBB2_14:                               ;   in Loop: Header=BB2_5 Depth=1
	s_branch .LBB2_9
.LBB2_15:
	s_endpgm
	.section	.rodata,"a",@progbits
	.p2align	6, 0x0
	.amdhsa_kernel _ZL27rocblas_geam_inplace_deviceILi16ELi16EPKfS1_PfEv18rocblas_operation_iiT1_S4_T2_lllT3_llli
		.amdhsa_group_segment_fixed_size 0
		.amdhsa_private_segment_fixed_size 0
		.amdhsa_kernarg_size 100
		.amdhsa_user_sgpr_count 2
		.amdhsa_user_sgpr_dispatch_ptr 0
		.amdhsa_user_sgpr_queue_ptr 0
		.amdhsa_user_sgpr_kernarg_segment_ptr 1
		.amdhsa_user_sgpr_dispatch_id 0
		.amdhsa_user_sgpr_kernarg_preload_length 0
		.amdhsa_user_sgpr_kernarg_preload_offset 0
		.amdhsa_user_sgpr_private_segment_size 0
		.amdhsa_wavefront_size32 1
		.amdhsa_uses_dynamic_stack 0
		.amdhsa_enable_private_segment 0
		.amdhsa_system_sgpr_workgroup_id_x 1
		.amdhsa_system_sgpr_workgroup_id_y 0
		.amdhsa_system_sgpr_workgroup_id_z 1
		.amdhsa_system_sgpr_workgroup_info 0
		.amdhsa_system_vgpr_workitem_id 1
		.amdhsa_next_free_vgpr 10
		.amdhsa_next_free_sgpr 31
		.amdhsa_named_barrier_count 0
		.amdhsa_reserve_vcc 1
		.amdhsa_float_round_mode_32 0
		.amdhsa_float_round_mode_16_64 0
		.amdhsa_float_denorm_mode_32 3
		.amdhsa_float_denorm_mode_16_64 3
		.amdhsa_fp16_overflow 0
		.amdhsa_memory_ordered 1
		.amdhsa_forward_progress 1
		.amdhsa_inst_pref_size 7
		.amdhsa_round_robin_scheduling 0
		.amdhsa_exception_fp_ieee_invalid_op 0
		.amdhsa_exception_fp_denorm_src 0
		.amdhsa_exception_fp_ieee_div_zero 0
		.amdhsa_exception_fp_ieee_overflow 0
		.amdhsa_exception_fp_ieee_underflow 0
		.amdhsa_exception_fp_ieee_inexact 0
		.amdhsa_exception_int_div_zero 0
	.end_amdhsa_kernel
	.section	.text._ZL27rocblas_geam_inplace_deviceILi16ELi16EPKfS1_PfEv18rocblas_operation_iiT1_S4_T2_lllT3_llli,"axG",@progbits,_ZL27rocblas_geam_inplace_deviceILi16ELi16EPKfS1_PfEv18rocblas_operation_iiT1_S4_T2_lllT3_llli,comdat
.Lfunc_end2:
	.size	_ZL27rocblas_geam_inplace_deviceILi16ELi16EPKfS1_PfEv18rocblas_operation_iiT1_S4_T2_lllT3_llli, .Lfunc_end2-_ZL27rocblas_geam_inplace_deviceILi16ELi16EPKfS1_PfEv18rocblas_operation_iiT1_S4_T2_lllT3_llli
                                        ; -- End function
	.set _ZL27rocblas_geam_inplace_deviceILi16ELi16EPKfS1_PfEv18rocblas_operation_iiT1_S4_T2_lllT3_llli.num_vgpr, 10
	.set _ZL27rocblas_geam_inplace_deviceILi16ELi16EPKfS1_PfEv18rocblas_operation_iiT1_S4_T2_lllT3_llli.num_agpr, 0
	.set _ZL27rocblas_geam_inplace_deviceILi16ELi16EPKfS1_PfEv18rocblas_operation_iiT1_S4_T2_lllT3_llli.numbered_sgpr, 31
	.set _ZL27rocblas_geam_inplace_deviceILi16ELi16EPKfS1_PfEv18rocblas_operation_iiT1_S4_T2_lllT3_llli.num_named_barrier, 0
	.set _ZL27rocblas_geam_inplace_deviceILi16ELi16EPKfS1_PfEv18rocblas_operation_iiT1_S4_T2_lllT3_llli.private_seg_size, 0
	.set _ZL27rocblas_geam_inplace_deviceILi16ELi16EPKfS1_PfEv18rocblas_operation_iiT1_S4_T2_lllT3_llli.uses_vcc, 1
	.set _ZL27rocblas_geam_inplace_deviceILi16ELi16EPKfS1_PfEv18rocblas_operation_iiT1_S4_T2_lllT3_llli.uses_flat_scratch, 0
	.set _ZL27rocblas_geam_inplace_deviceILi16ELi16EPKfS1_PfEv18rocblas_operation_iiT1_S4_T2_lllT3_llli.has_dyn_sized_stack, 0
	.set _ZL27rocblas_geam_inplace_deviceILi16ELi16EPKfS1_PfEv18rocblas_operation_iiT1_S4_T2_lllT3_llli.has_recursion, 0
	.set _ZL27rocblas_geam_inplace_deviceILi16ELi16EPKfS1_PfEv18rocblas_operation_iiT1_S4_T2_lllT3_llli.has_indirect_call, 0
	.section	.AMDGPU.csdata,"",@progbits
; Kernel info:
; codeLenInByte = 776
; TotalNumSgprs: 33
; NumVgprs: 10
; ScratchSize: 0
; MemoryBound: 0
; FloatMode: 240
; IeeeMode: 1
; LDSByteSize: 0 bytes/workgroup (compile time only)
; SGPRBlocks: 0
; VGPRBlocks: 0
; NumSGPRsForWavesPerEU: 33
; NumVGPRsForWavesPerEU: 10
; NamedBarCnt: 0
; Occupancy: 16
; WaveLimiterHint : 0
; COMPUTE_PGM_RSRC2:SCRATCH_EN: 0
; COMPUTE_PGM_RSRC2:USER_SGPR: 2
; COMPUTE_PGM_RSRC2:TRAP_HANDLER: 0
; COMPUTE_PGM_RSRC2:TGID_X_EN: 1
; COMPUTE_PGM_RSRC2:TGID_Y_EN: 0
; COMPUTE_PGM_RSRC2:TGID_Z_EN: 1
; COMPUTE_PGM_RSRC2:TIDIG_COMP_CNT: 1
	.section	.text._ZL30rocblas_geam_1D_2matrix_deviceILi256EfPKfPfEvmT0_T1_llT2_lli,"axG",@progbits,_ZL30rocblas_geam_1D_2matrix_deviceILi256EfPKfPfEvmT0_T1_llT2_lli,comdat
	.globl	_ZL30rocblas_geam_1D_2matrix_deviceILi256EfPKfPfEvmT0_T1_llT2_lli ; -- Begin function _ZL30rocblas_geam_1D_2matrix_deviceILi256EfPKfPfEvmT0_T1_llT2_lli
	.p2align	8
	.type	_ZL30rocblas_geam_1D_2matrix_deviceILi256EfPKfPfEvmT0_T1_llT2_lli,@function
_ZL30rocblas_geam_1D_2matrix_deviceILi256EfPKfPfEvmT0_T1_llT2_lli: ; @_ZL30rocblas_geam_1D_2matrix_deviceILi256EfPKfPfEvmT0_T1_llT2_lli
; %bb.0:
	s_load_b32 s19, s[0:1], 0x40
	s_bfe_u32 s2, ttmp6, 0x40014
	s_lshr_b32 s3, ttmp7, 16
	s_add_co_i32 s2, s2, 1
	s_bfe_u32 s4, ttmp6, 0x40008
	s_mul_i32 s2, s3, s2
	s_getreg_b32 s20, hwreg(HW_REG_IB_STS2, 6, 4)
	s_add_co_i32 s4, s4, s2
	s_cmp_eq_u32 s20, 0
	s_cselect_b32 s2, s3, s4
	s_mov_b32 s3, 0
	s_wait_kmcnt 0x0
	s_cmp_ge_u32 s2, s19
	s_cbranch_scc1 .LBB3_8
; %bb.1:
	s_clause 0x2
	s_load_b32 s21, s[0:1], 0x54
	s_load_b128 s[12:15], s[0:1], 0x30
	s_load_b96 s[16:18], s[0:1], 0x0
	s_bfe_u32 s22, ttmp6, 0x4000c
	s_load_b256 s[4:11], s[0:1], 0x10
	s_add_co_i32 s22, s22, 1
	s_wait_xcnt 0x0
	s_and_b32 s0, ttmp6, 15
	s_mul_i32 s1, ttmp9, s22
	v_mov_b32_e32 v1, 0
	s_add_co_i32 s0, s0, s1
	s_wait_kmcnt 0x0
	s_and_b32 s1, s21, 0xffff
	s_cmp_eq_u32 s20, 0
	s_cselect_b32 s0, ttmp9, s0
	s_lshl_b64 s[6:7], s[6:7], 2
	v_mad_nc_u64_u32 v[0:1], s1, s0, v[0:1]
	s_lshl_b64 s[0:1], s[12:13], 2
	s_add_nc_u64 s[4:5], s[4:5], s[6:7]
	s_add_nc_u64 s[10:11], s[10:11], s[0:1]
	s_cmp_neq_f32 s18, 0
	s_cselect_b32 s1, -1, 0
	s_delay_alu instid0(VALU_DEP_1) | instskip(SKIP_1) | instid1(VALU_DEP_2)
	v_lshlrev_b64_e32 v[2:3], 2, v[0:1]
	v_cmp_gt_u64_e64 s0, s[16:17], v[0:1]
	v_add_nc_u64_e32 v[0:1], s[4:5], v[2:3]
	v_add_nc_u64_e32 v[2:3], s[10:11], v[2:3]
	s_branch .LBB3_5
.LBB3_2:                                ;   in Loop: Header=BB3_5 Depth=1
	s_mul_u64 s[6:7], s[8:9], s[2:3]
	s_delay_alu instid0(SALU_CYCLE_1)
	v_lshl_add_u64 v[4:5], s[6:7], 2, v[0:1]
	global_load_b32 v4, v[4:5], off
	s_wait_loadcnt 0x0
	s_wait_xcnt 0x0
	v_mul_f32_e32 v4, s18, v4
.LBB3_3:                                ;   in Loop: Header=BB3_5 Depth=1
	s_mul_u64 s[6:7], s[14:15], s[2:3]
	s_delay_alu instid0(SALU_CYCLE_1)
	v_lshl_add_u64 v[6:7], s[6:7], 2, v[2:3]
	global_store_b32 v[6:7], v4, off
.LBB3_4:                                ;   in Loop: Header=BB3_5 Depth=1
	s_wait_xcnt 0x0
	s_or_b32 exec_lo, exec_lo, s4
	s_add_co_i32 s2, s2, 0x10000
	s_delay_alu instid0(SALU_CYCLE_1)
	s_cmp_lt_u32 s2, s19
	s_cbranch_scc0 .LBB3_8
.LBB3_5:                                ; =>This Inner Loop Header: Depth=1
	s_delay_alu instid0(VALU_DEP_3)
	s_and_saveexec_b32 s4, s0
	s_cbranch_execz .LBB3_4
; %bb.6:                                ;   in Loop: Header=BB3_5 Depth=1
	s_and_not1_b32 vcc_lo, exec_lo, s1
	s_cbranch_vccz .LBB3_2
; %bb.7:                                ;   in Loop: Header=BB3_5 Depth=1
	v_mov_b32_e32 v4, 0
	s_branch .LBB3_3
.LBB3_8:
	s_endpgm
	.section	.rodata,"a",@progbits
	.p2align	6, 0x0
	.amdhsa_kernel _ZL30rocblas_geam_1D_2matrix_deviceILi256EfPKfPfEvmT0_T1_llT2_lli
		.amdhsa_group_segment_fixed_size 0
		.amdhsa_private_segment_fixed_size 0
		.amdhsa_kernarg_size 328
		.amdhsa_user_sgpr_count 2
		.amdhsa_user_sgpr_dispatch_ptr 0
		.amdhsa_user_sgpr_queue_ptr 0
		.amdhsa_user_sgpr_kernarg_segment_ptr 1
		.amdhsa_user_sgpr_dispatch_id 0
		.amdhsa_user_sgpr_kernarg_preload_length 0
		.amdhsa_user_sgpr_kernarg_preload_offset 0
		.amdhsa_user_sgpr_private_segment_size 0
		.amdhsa_wavefront_size32 1
		.amdhsa_uses_dynamic_stack 0
		.amdhsa_enable_private_segment 0
		.amdhsa_system_sgpr_workgroup_id_x 1
		.amdhsa_system_sgpr_workgroup_id_y 0
		.amdhsa_system_sgpr_workgroup_id_z 1
		.amdhsa_system_sgpr_workgroup_info 0
		.amdhsa_system_vgpr_workitem_id 0
		.amdhsa_next_free_vgpr 8
		.amdhsa_next_free_sgpr 23
		.amdhsa_named_barrier_count 0
		.amdhsa_reserve_vcc 1
		.amdhsa_float_round_mode_32 0
		.amdhsa_float_round_mode_16_64 0
		.amdhsa_float_denorm_mode_32 3
		.amdhsa_float_denorm_mode_16_64 3
		.amdhsa_fp16_overflow 0
		.amdhsa_memory_ordered 1
		.amdhsa_forward_progress 1
		.amdhsa_inst_pref_size 3
		.amdhsa_round_robin_scheduling 0
		.amdhsa_exception_fp_ieee_invalid_op 0
		.amdhsa_exception_fp_denorm_src 0
		.amdhsa_exception_fp_ieee_div_zero 0
		.amdhsa_exception_fp_ieee_overflow 0
		.amdhsa_exception_fp_ieee_underflow 0
		.amdhsa_exception_fp_ieee_inexact 0
		.amdhsa_exception_int_div_zero 0
	.end_amdhsa_kernel
	.section	.text._ZL30rocblas_geam_1D_2matrix_deviceILi256EfPKfPfEvmT0_T1_llT2_lli,"axG",@progbits,_ZL30rocblas_geam_1D_2matrix_deviceILi256EfPKfPfEvmT0_T1_llT2_lli,comdat
.Lfunc_end3:
	.size	_ZL30rocblas_geam_1D_2matrix_deviceILi256EfPKfPfEvmT0_T1_llT2_lli, .Lfunc_end3-_ZL30rocblas_geam_1D_2matrix_deviceILi256EfPKfPfEvmT0_T1_llT2_lli
                                        ; -- End function
	.set _ZL30rocblas_geam_1D_2matrix_deviceILi256EfPKfPfEvmT0_T1_llT2_lli.num_vgpr, 8
	.set _ZL30rocblas_geam_1D_2matrix_deviceILi256EfPKfPfEvmT0_T1_llT2_lli.num_agpr, 0
	.set _ZL30rocblas_geam_1D_2matrix_deviceILi256EfPKfPfEvmT0_T1_llT2_lli.numbered_sgpr, 23
	.set _ZL30rocblas_geam_1D_2matrix_deviceILi256EfPKfPfEvmT0_T1_llT2_lli.num_named_barrier, 0
	.set _ZL30rocblas_geam_1D_2matrix_deviceILi256EfPKfPfEvmT0_T1_llT2_lli.private_seg_size, 0
	.set _ZL30rocblas_geam_1D_2matrix_deviceILi256EfPKfPfEvmT0_T1_llT2_lli.uses_vcc, 1
	.set _ZL30rocblas_geam_1D_2matrix_deviceILi256EfPKfPfEvmT0_T1_llT2_lli.uses_flat_scratch, 0
	.set _ZL30rocblas_geam_1D_2matrix_deviceILi256EfPKfPfEvmT0_T1_llT2_lli.has_dyn_sized_stack, 0
	.set _ZL30rocblas_geam_1D_2matrix_deviceILi256EfPKfPfEvmT0_T1_llT2_lli.has_recursion, 0
	.set _ZL30rocblas_geam_1D_2matrix_deviceILi256EfPKfPfEvmT0_T1_llT2_lli.has_indirect_call, 0
	.section	.AMDGPU.csdata,"",@progbits
; Kernel info:
; codeLenInByte = 344
; TotalNumSgprs: 25
; NumVgprs: 8
; ScratchSize: 0
; MemoryBound: 0
; FloatMode: 240
; IeeeMode: 1
; LDSByteSize: 0 bytes/workgroup (compile time only)
; SGPRBlocks: 0
; VGPRBlocks: 0
; NumSGPRsForWavesPerEU: 25
; NumVGPRsForWavesPerEU: 8
; NamedBarCnt: 0
; Occupancy: 16
; WaveLimiterHint : 0
; COMPUTE_PGM_RSRC2:SCRATCH_EN: 0
; COMPUTE_PGM_RSRC2:USER_SGPR: 2
; COMPUTE_PGM_RSRC2:TRAP_HANDLER: 0
; COMPUTE_PGM_RSRC2:TGID_X_EN: 1
; COMPUTE_PGM_RSRC2:TGID_Y_EN: 0
; COMPUTE_PGM_RSRC2:TGID_Z_EN: 1
; COMPUTE_PGM_RSRC2:TIDIG_COMP_CNT: 0
	.section	.text._ZL27rocblas_geam_2matrix_deviceILi16ELi16EfPKfPfEv18rocblas_operation_iiT1_T2_lllT3_llli,"axG",@progbits,_ZL27rocblas_geam_2matrix_deviceILi16ELi16EfPKfPfEv18rocblas_operation_iiT1_T2_lllT3_llli,comdat
	.globl	_ZL27rocblas_geam_2matrix_deviceILi16ELi16EfPKfPfEv18rocblas_operation_iiT1_T2_lllT3_llli ; -- Begin function _ZL27rocblas_geam_2matrix_deviceILi16ELi16EfPKfPfEv18rocblas_operation_iiT1_T2_lllT3_llli
	.p2align	8
	.type	_ZL27rocblas_geam_2matrix_deviceILi16ELi16EfPKfPfEv18rocblas_operation_iiT1_T2_lllT3_llli,@function
_ZL27rocblas_geam_2matrix_deviceILi16ELi16EfPKfPfEv18rocblas_operation_iiT1_T2_lllT3_llli: ; @_ZL27rocblas_geam_2matrix_deviceILi16ELi16EfPKfPfEv18rocblas_operation_iiT1_T2_lllT3_llli
; %bb.0:
	s_load_b32 s24, s[0:1], 0x50
	s_bfe_u32 s2, ttmp6, 0x40014
	s_lshr_b32 s3, ttmp7, 16
	s_add_co_i32 s2, s2, 1
	s_bfe_u32 s4, ttmp6, 0x40008
	s_mul_i32 s2, s3, s2
	s_getreg_b32 s25, hwreg(HW_REG_IB_STS2, 6, 4)
	s_add_co_i32 s4, s4, s2
	s_cmp_eq_u32 s25, 0
	s_cselect_b32 s2, s3, s4
	s_mov_b32 s3, 0
	s_wait_kmcnt 0x0
	s_cmp_ge_u32 s2, s24
	s_cbranch_scc1 .LBB4_8
; %bb.1:
	s_load_b128 s[20:23], s[0:1], 0x0
	s_and_b32 s28, ttmp6, 15
	v_and_b32_e32 v2, 0x3ff, v0
	s_wait_kmcnt 0x0
	s_add_co_i32 s4, s21, -1
	s_delay_alu instid0(SALU_CYCLE_1) | instskip(NEXT) | instid1(SALU_CYCLE_1)
	s_ashr_i32 s5, s4, 31
	s_lshr_b32 s5, s5, 28
	s_delay_alu instid0(SALU_CYCLE_1) | instskip(NEXT) | instid1(SALU_CYCLE_1)
	s_add_co_i32 s4, s4, s5
	s_ashr_i32 s26, s4, 4
	s_delay_alu instid0(SALU_CYCLE_1) | instskip(SKIP_2) | instid1(SALU_CYCLE_3)
	s_add_co_i32 s27, s26, 1
	s_not_b32 s26, s26
	s_cvt_f32_u32 s4, s27
	v_rcp_iflag_f32_e32 v1, s4
	s_load_b512 s[4:19], s[0:1], 0x10
	s_wait_xcnt 0x0
	s_bfe_u32 s1, ttmp6, 0x4000c
	s_delay_alu instid0(SALU_CYCLE_1) | instskip(NEXT) | instid1(SALU_CYCLE_1)
	s_add_co_i32 s1, s1, 1
	s_mul_i32 s1, ttmp9, s1
	v_nop
	v_readfirstlane_b32 s0, v1
	s_add_co_i32 s28, s28, s1
	v_bfe_u32 v1, v0, 10, 10
	s_mul_f32 s0, s0, 0x4f7ffffe
	s_delay_alu instid0(SALU_CYCLE_3) | instskip(NEXT) | instid1(SALU_CYCLE_3)
	s_cvt_u32_f32 s0, s0
	s_mul_i32 s26, s26, s0
	s_wait_kmcnt 0x0
	s_lshl_b64 s[14:15], s[14:15], 2
	s_mul_hi_u32 s1, s0, s26
	s_lshl_b64 s[6:7], s[6:7], 2
	s_add_co_i32 s0, s0, s1
	s_cmp_eq_u32 s25, 0
	s_add_nc_u64 s[4:5], s[4:5], s[6:7]
	s_cselect_b32 s1, ttmp9, s28
	s_delay_alu instid0(SALU_CYCLE_1) | instskip(NEXT) | instid1(SALU_CYCLE_1)
	s_mul_hi_u32 s0, s1, s0
	s_mul_i32 s25, s0, s27
	s_add_co_i32 s26, s0, 1
	s_sub_co_i32 s25, s1, s25
	s_delay_alu instid0(SALU_CYCLE_1)
	s_sub_co_i32 s28, s25, s27
	s_cmp_ge_u32 s25, s27
	s_cselect_b32 s0, s26, s0
	s_cselect_b32 s25, s28, s25
	s_add_co_i32 s26, s0, 1
	s_cmp_ge_u32 s25, s27
	s_cselect_b32 s0, s26, s0
	s_delay_alu instid0(SALU_CYCLE_1) | instskip(SKIP_2) | instid1(SALU_CYCLE_1)
	s_mul_i32 s25, s0, s27
	v_lshl_add_u32 v0, s0, 4, v1
	s_sub_co_i32 s0, s1, s25
	v_lshl_add_u32 v2, s0, 4, v2
	s_delay_alu instid0(VALU_DEP_2) | instskip(SKIP_1) | instid1(VALU_DEP_3)
	v_ashrrev_i32_e32 v1, 31, v0
	v_cmp_gt_i32_e32 vcc_lo, s22, v0
	v_ashrrev_i32_e32 v3, 31, v2
	v_cmp_gt_i32_e64 s0, s21, v2
	s_delay_alu instid0(VALU_DEP_4) | instskip(SKIP_1) | instid1(VALU_DEP_4)
	v_mad_nc_u64_u32 v[6:7], s8, v2, v[0:1]
	v_mul_u64_e32 v[4:5], s[16:17], v[0:1]
	v_mad_nc_u64_u32 v[8:9], s8, v0, v[2:3]
	s_and_b32 s0, s0, vcc_lo
	s_cmp_neq_f32 s23, 0
	s_cselect_b32 s1, -1, 0
	s_cmp_eq_u32 s20, 0x6f
	s_delay_alu instid0(VALU_DEP_3) | instskip(SKIP_1) | instid1(VALU_DEP_2)
	v_mad_u32 v7, s9, v2, v7
	s_cselect_b32 vcc_lo, -1, 0
	v_mad_u32 v9, s9, v0, v9
	s_delay_alu instid0(VALU_DEP_2) | instskip(NEXT) | instid1(VALU_DEP_2)
	v_mad_u32 v7, s8, v3, v7
	v_mad_u32 v9, s8, v1, v9
	s_add_nc_u64 s[8:9], s[12:13], s[14:15]
	s_delay_alu instid0(SALU_CYCLE_1) | instskip(NEXT) | instid1(VALU_DEP_2)
	v_lshl_add_u64 v[0:1], v[4:5], 2, s[8:9]
	v_dual_cndmask_b32 v4, v6, v8 :: v_dual_cndmask_b32 v5, v7, v9
	s_delay_alu instid0(VALU_DEP_2) | instskip(NEXT) | instid1(VALU_DEP_2)
	v_lshl_add_u64 v[0:1], v[2:3], 2, v[0:1]
	v_lshl_add_u64 v[2:3], v[4:5], 2, s[4:5]
	s_branch .LBB4_5
.LBB4_2:                                ;   in Loop: Header=BB4_5 Depth=1
	s_mul_u64 s[6:7], s[10:11], s[2:3]
	s_delay_alu instid0(SALU_CYCLE_1)
	v_lshl_add_u64 v[4:5], s[6:7], 2, v[2:3]
	global_load_b32 v4, v[4:5], off
	s_wait_loadcnt 0x0
	s_wait_xcnt 0x0
	v_mul_f32_e32 v4, s23, v4
.LBB4_3:                                ;   in Loop: Header=BB4_5 Depth=1
	s_mul_u64 s[6:7], s[18:19], s[2:3]
	s_delay_alu instid0(SALU_CYCLE_1)
	v_lshl_add_u64 v[6:7], s[6:7], 2, v[0:1]
	global_store_b32 v[6:7], v4, off
.LBB4_4:                                ;   in Loop: Header=BB4_5 Depth=1
	s_wait_xcnt 0x0
	s_or_b32 exec_lo, exec_lo, s4
	s_add_co_i32 s2, s2, 0x10000
	s_delay_alu instid0(SALU_CYCLE_1)
	s_cmp_lt_u32 s2, s24
	s_cbranch_scc0 .LBB4_8
.LBB4_5:                                ; =>This Inner Loop Header: Depth=1
	s_and_saveexec_b32 s4, s0
	s_cbranch_execz .LBB4_4
; %bb.6:                                ;   in Loop: Header=BB4_5 Depth=1
	s_and_not1_b32 vcc_lo, exec_lo, s1
	s_cbranch_vccz .LBB4_2
; %bb.7:                                ;   in Loop: Header=BB4_5 Depth=1
	v_mov_b32_e32 v4, 0
	s_branch .LBB4_3
.LBB4_8:
	s_endpgm
	.section	.rodata,"a",@progbits
	.p2align	6, 0x0
	.amdhsa_kernel _ZL27rocblas_geam_2matrix_deviceILi16ELi16EfPKfPfEv18rocblas_operation_iiT1_T2_lllT3_llli
		.amdhsa_group_segment_fixed_size 0
		.amdhsa_private_segment_fixed_size 0
		.amdhsa_kernarg_size 84
		.amdhsa_user_sgpr_count 2
		.amdhsa_user_sgpr_dispatch_ptr 0
		.amdhsa_user_sgpr_queue_ptr 0
		.amdhsa_user_sgpr_kernarg_segment_ptr 1
		.amdhsa_user_sgpr_dispatch_id 0
		.amdhsa_user_sgpr_kernarg_preload_length 0
		.amdhsa_user_sgpr_kernarg_preload_offset 0
		.amdhsa_user_sgpr_private_segment_size 0
		.amdhsa_wavefront_size32 1
		.amdhsa_uses_dynamic_stack 0
		.amdhsa_enable_private_segment 0
		.amdhsa_system_sgpr_workgroup_id_x 1
		.amdhsa_system_sgpr_workgroup_id_y 0
		.amdhsa_system_sgpr_workgroup_id_z 1
		.amdhsa_system_sgpr_workgroup_info 0
		.amdhsa_system_vgpr_workitem_id 1
		.amdhsa_next_free_vgpr 10
		.amdhsa_next_free_sgpr 29
		.amdhsa_named_barrier_count 0
		.amdhsa_reserve_vcc 1
		.amdhsa_float_round_mode_32 0
		.amdhsa_float_round_mode_16_64 0
		.amdhsa_float_denorm_mode_32 3
		.amdhsa_float_denorm_mode_16_64 3
		.amdhsa_fp16_overflow 0
		.amdhsa_memory_ordered 1
		.amdhsa_forward_progress 1
		.amdhsa_inst_pref_size 5
		.amdhsa_round_robin_scheduling 0
		.amdhsa_exception_fp_ieee_invalid_op 0
		.amdhsa_exception_fp_denorm_src 0
		.amdhsa_exception_fp_ieee_div_zero 0
		.amdhsa_exception_fp_ieee_overflow 0
		.amdhsa_exception_fp_ieee_underflow 0
		.amdhsa_exception_fp_ieee_inexact 0
		.amdhsa_exception_int_div_zero 0
	.end_amdhsa_kernel
	.section	.text._ZL27rocblas_geam_2matrix_deviceILi16ELi16EfPKfPfEv18rocblas_operation_iiT1_T2_lllT3_llli,"axG",@progbits,_ZL27rocblas_geam_2matrix_deviceILi16ELi16EfPKfPfEv18rocblas_operation_iiT1_T2_lllT3_llli,comdat
.Lfunc_end4:
	.size	_ZL27rocblas_geam_2matrix_deviceILi16ELi16EfPKfPfEv18rocblas_operation_iiT1_T2_lllT3_llli, .Lfunc_end4-_ZL27rocblas_geam_2matrix_deviceILi16ELi16EfPKfPfEv18rocblas_operation_iiT1_T2_lllT3_llli
                                        ; -- End function
	.set _ZL27rocblas_geam_2matrix_deviceILi16ELi16EfPKfPfEv18rocblas_operation_iiT1_T2_lllT3_llli.num_vgpr, 10
	.set _ZL27rocblas_geam_2matrix_deviceILi16ELi16EfPKfPfEv18rocblas_operation_iiT1_T2_lllT3_llli.num_agpr, 0
	.set _ZL27rocblas_geam_2matrix_deviceILi16ELi16EfPKfPfEv18rocblas_operation_iiT1_T2_lllT3_llli.numbered_sgpr, 29
	.set _ZL27rocblas_geam_2matrix_deviceILi16ELi16EfPKfPfEv18rocblas_operation_iiT1_T2_lllT3_llli.num_named_barrier, 0
	.set _ZL27rocblas_geam_2matrix_deviceILi16ELi16EfPKfPfEv18rocblas_operation_iiT1_T2_lllT3_llli.private_seg_size, 0
	.set _ZL27rocblas_geam_2matrix_deviceILi16ELi16EfPKfPfEv18rocblas_operation_iiT1_T2_lllT3_llli.uses_vcc, 1
	.set _ZL27rocblas_geam_2matrix_deviceILi16ELi16EfPKfPfEv18rocblas_operation_iiT1_T2_lllT3_llli.uses_flat_scratch, 0
	.set _ZL27rocblas_geam_2matrix_deviceILi16ELi16EfPKfPfEv18rocblas_operation_iiT1_T2_lllT3_llli.has_dyn_sized_stack, 0
	.set _ZL27rocblas_geam_2matrix_deviceILi16ELi16EfPKfPfEv18rocblas_operation_iiT1_T2_lllT3_llli.has_recursion, 0
	.set _ZL27rocblas_geam_2matrix_deviceILi16ELi16EfPKfPfEv18rocblas_operation_iiT1_T2_lllT3_llli.has_indirect_call, 0
	.section	.AMDGPU.csdata,"",@progbits
; Kernel info:
; codeLenInByte = 608
; TotalNumSgprs: 31
; NumVgprs: 10
; ScratchSize: 0
; MemoryBound: 0
; FloatMode: 240
; IeeeMode: 1
; LDSByteSize: 0 bytes/workgroup (compile time only)
; SGPRBlocks: 0
; VGPRBlocks: 0
; NumSGPRsForWavesPerEU: 31
; NumVGPRsForWavesPerEU: 10
; NamedBarCnt: 0
; Occupancy: 16
; WaveLimiterHint : 0
; COMPUTE_PGM_RSRC2:SCRATCH_EN: 0
; COMPUTE_PGM_RSRC2:USER_SGPR: 2
; COMPUTE_PGM_RSRC2:TRAP_HANDLER: 0
; COMPUTE_PGM_RSRC2:TGID_X_EN: 1
; COMPUTE_PGM_RSRC2:TGID_Y_EN: 0
; COMPUTE_PGM_RSRC2:TGID_Z_EN: 1
; COMPUTE_PGM_RSRC2:TIDIG_COMP_CNT: 1
	.section	.text._ZL22rocblas_geam_1D_deviceILi256EfPKfPfEvmT0_T1_llS3_S4_llT2_lli,"axG",@progbits,_ZL22rocblas_geam_1D_deviceILi256EfPKfPfEvmT0_T1_llS3_S4_llT2_lli,comdat
	.globl	_ZL22rocblas_geam_1D_deviceILi256EfPKfPfEvmT0_T1_llS3_S4_llT2_lli ; -- Begin function _ZL22rocblas_geam_1D_deviceILi256EfPKfPfEvmT0_T1_llS3_S4_llT2_lli
	.p2align	8
	.type	_ZL22rocblas_geam_1D_deviceILi256EfPKfPfEvmT0_T1_llS3_S4_llT2_lli,@function
_ZL22rocblas_geam_1D_deviceILi256EfPKfPfEvmT0_T1_llS3_S4_llT2_lli: ; @_ZL22rocblas_geam_1D_deviceILi256EfPKfPfEvmT0_T1_llS3_S4_llT2_lli
; %bb.0:
	s_load_b32 s19, s[0:1], 0x60
	s_bfe_u32 s2, ttmp6, 0x40014
	s_lshr_b32 s3, ttmp7, 16
	s_add_co_i32 s2, s2, 1
	s_bfe_u32 s4, ttmp6, 0x40008
	s_mul_i32 s2, s3, s2
	s_getreg_b32 s23, hwreg(HW_REG_IB_STS2, 6, 4)
	s_add_co_i32 s4, s4, s2
	s_cmp_eq_u32 s23, 0
	s_cselect_b32 s2, s3, s4
	s_mov_b32 s3, 0
	s_wait_kmcnt 0x0
	s_cmp_ge_u32 s2, s19
	s_cbranch_scc1 .LBB5_11
; %bb.1:
	s_clause 0x4
	s_load_b32 s28, s[0:1], 0x74
	s_load_b128 s[12:15], s[0:1], 0x50
	s_load_b96 s[16:18], s[0:1], 0x0
	s_load_b128 s[24:27], s[0:1], 0x10
	s_load_b256 s[4:11], s[0:1], 0x30
	s_bfe_u32 s29, ttmp6, 0x4000c
	s_load_b96 s[20:22], s[0:1], 0x20
	s_add_co_i32 s29, s29, 1
	s_wait_xcnt 0x0
	s_and_b32 s0, ttmp6, 15
	s_mul_i32 s1, ttmp9, s29
	v_mov_b32_e32 v1, 0
	s_add_co_i32 s0, s0, s1
	s_wait_kmcnt 0x0
	s_and_b32 s1, s28, 0xffff
	s_cmp_eq_u32 s23, 0
	s_cselect_b32 s0, ttmp9, s0
	s_lshl_b64 s[6:7], s[6:7], 2
	v_mad_nc_u64_u32 v[0:1], s1, s0, v[0:1]
	s_lshl_b64 s[0:1], s[12:13], 2
	s_lshl_b64 s[12:13], s[26:27], 2
	s_cmp_neq_f32 s22, 0
	s_add_nc_u64 s[10:11], s[10:11], s[0:1]
	s_add_nc_u64 s[12:13], s[24:25], s[12:13]
	;; [unrolled: 1-line block ×3, first 2 shown]
	s_cselect_b32 s1, -1, 0
	s_cmp_neq_f32 s18, 0
	v_cndmask_b32_e64 v6, 0, 1, s1
	s_delay_alu instid0(VALU_DEP_2) | instskip(SKIP_1) | instid1(VALU_DEP_2)
	v_lshlrev_b64_e32 v[4:5], 2, v[0:1]
	v_cmp_gt_u64_e64 s0, s[16:17], v[0:1]
	v_add_nc_u64_e32 v[0:1], s[4:5], v[4:5]
	v_add_nc_u64_e32 v[2:3], s[12:13], v[4:5]
	;; [unrolled: 1-line block ×3, first 2 shown]
	s_cselect_b32 s4, -1, 0
	s_delay_alu instid0(SALU_CYCLE_1)
	v_cndmask_b32_e64 v7, 0, 1, s4
	s_or_b32 s1, s4, s1
	s_branch .LBB5_5
.LBB5_2:                                ;   in Loop: Header=BB5_5 Depth=1
	s_delay_alu instid0(VALU_DEP_1)
	v_add_f32_e32 v8, v9, v8
.LBB5_3:                                ;   in Loop: Header=BB5_5 Depth=1
	s_mul_u64 s[6:7], s[14:15], s[2:3]
	s_wait_xcnt 0x0
	v_lshl_add_u64 v[10:11], s[6:7], 2, v[4:5]
	global_store_b32 v[10:11], v8, off
.LBB5_4:                                ;   in Loop: Header=BB5_5 Depth=1
	s_wait_xcnt 0x0
	s_or_b32 exec_lo, exec_lo, s4
	s_add_co_i32 s2, s2, 0x10000
	s_delay_alu instid0(SALU_CYCLE_1)
	s_cmp_lt_u32 s2, s19
	s_cbranch_scc0 .LBB5_11
.LBB5_5:                                ; =>This Inner Loop Header: Depth=1
	s_and_saveexec_b32 s4, s0
	s_cbranch_execz .LBB5_4
; %bb.6:                                ;   in Loop: Header=BB5_5 Depth=1
	v_mov_b32_e32 v8, 0
	s_and_not1_b32 vcc_lo, exec_lo, s1
	s_cbranch_vccnz .LBB5_3
; %bb.7:                                ;   in Loop: Header=BB5_5 Depth=1
	v_cmp_ne_u32_e32 vcc_lo, 1, v6
	v_dual_mov_b32 v8, 0 :: v_dual_mov_b32 v9, 0
	s_cbranch_vccnz .LBB5_9
; %bb.8:                                ;   in Loop: Header=BB5_5 Depth=1
	s_mul_u64 s[6:7], s[8:9], s[2:3]
	s_delay_alu instid0(SALU_CYCLE_1)
	v_lshl_add_u64 v[10:11], s[6:7], 2, v[0:1]
	global_load_b32 v9, v[10:11], off
	s_wait_loadcnt 0x0
	v_mul_f32_e32 v9, s22, v9
.LBB5_9:                                ;   in Loop: Header=BB5_5 Depth=1
	v_cmp_ne_u32_e32 vcc_lo, 1, v7
	s_cbranch_vccnz .LBB5_2
; %bb.10:                               ;   in Loop: Header=BB5_5 Depth=1
	s_mul_u64 s[6:7], s[20:21], s[2:3]
	s_wait_xcnt 0x0
	v_lshl_add_u64 v[10:11], s[6:7], 2, v[2:3]
	global_load_b32 v8, v[10:11], off
	s_wait_loadcnt 0x0
	v_mul_f32_e32 v8, s18, v8
	s_branch .LBB5_2
.LBB5_11:
	s_endpgm
	.section	.rodata,"a",@progbits
	.p2align	6, 0x0
	.amdhsa_kernel _ZL22rocblas_geam_1D_deviceILi256EfPKfPfEvmT0_T1_llS3_S4_llT2_lli
		.amdhsa_group_segment_fixed_size 0
		.amdhsa_private_segment_fixed_size 0
		.amdhsa_kernarg_size 360
		.amdhsa_user_sgpr_count 2
		.amdhsa_user_sgpr_dispatch_ptr 0
		.amdhsa_user_sgpr_queue_ptr 0
		.amdhsa_user_sgpr_kernarg_segment_ptr 1
		.amdhsa_user_sgpr_dispatch_id 0
		.amdhsa_user_sgpr_kernarg_preload_length 0
		.amdhsa_user_sgpr_kernarg_preload_offset 0
		.amdhsa_user_sgpr_private_segment_size 0
		.amdhsa_wavefront_size32 1
		.amdhsa_uses_dynamic_stack 0
		.amdhsa_enable_private_segment 0
		.amdhsa_system_sgpr_workgroup_id_x 1
		.amdhsa_system_sgpr_workgroup_id_y 0
		.amdhsa_system_sgpr_workgroup_id_z 1
		.amdhsa_system_sgpr_workgroup_info 0
		.amdhsa_system_vgpr_workitem_id 0
		.amdhsa_next_free_vgpr 12
		.amdhsa_next_free_sgpr 30
		.amdhsa_named_barrier_count 0
		.amdhsa_reserve_vcc 1
		.amdhsa_float_round_mode_32 0
		.amdhsa_float_round_mode_16_64 0
		.amdhsa_float_denorm_mode_32 3
		.amdhsa_float_denorm_mode_16_64 3
		.amdhsa_fp16_overflow 0
		.amdhsa_memory_ordered 1
		.amdhsa_forward_progress 1
		.amdhsa_inst_pref_size 4
		.amdhsa_round_robin_scheduling 0
		.amdhsa_exception_fp_ieee_invalid_op 0
		.amdhsa_exception_fp_denorm_src 0
		.amdhsa_exception_fp_ieee_div_zero 0
		.amdhsa_exception_fp_ieee_overflow 0
		.amdhsa_exception_fp_ieee_underflow 0
		.amdhsa_exception_fp_ieee_inexact 0
		.amdhsa_exception_int_div_zero 0
	.end_amdhsa_kernel
	.section	.text._ZL22rocblas_geam_1D_deviceILi256EfPKfPfEvmT0_T1_llS3_S4_llT2_lli,"axG",@progbits,_ZL22rocblas_geam_1D_deviceILi256EfPKfPfEvmT0_T1_llS3_S4_llT2_lli,comdat
.Lfunc_end5:
	.size	_ZL22rocblas_geam_1D_deviceILi256EfPKfPfEvmT0_T1_llS3_S4_llT2_lli, .Lfunc_end5-_ZL22rocblas_geam_1D_deviceILi256EfPKfPfEvmT0_T1_llS3_S4_llT2_lli
                                        ; -- End function
	.set _ZL22rocblas_geam_1D_deviceILi256EfPKfPfEvmT0_T1_llS3_S4_llT2_lli.num_vgpr, 12
	.set _ZL22rocblas_geam_1D_deviceILi256EfPKfPfEvmT0_T1_llS3_S4_llT2_lli.num_agpr, 0
	.set _ZL22rocblas_geam_1D_deviceILi256EfPKfPfEvmT0_T1_llS3_S4_llT2_lli.numbered_sgpr, 30
	.set _ZL22rocblas_geam_1D_deviceILi256EfPKfPfEvmT0_T1_llS3_S4_llT2_lli.num_named_barrier, 0
	.set _ZL22rocblas_geam_1D_deviceILi256EfPKfPfEvmT0_T1_llS3_S4_llT2_lli.private_seg_size, 0
	.set _ZL22rocblas_geam_1D_deviceILi256EfPKfPfEvmT0_T1_llS3_S4_llT2_lli.uses_vcc, 1
	.set _ZL22rocblas_geam_1D_deviceILi256EfPKfPfEvmT0_T1_llS3_S4_llT2_lli.uses_flat_scratch, 0
	.set _ZL22rocblas_geam_1D_deviceILi256EfPKfPfEvmT0_T1_llS3_S4_llT2_lli.has_dyn_sized_stack, 0
	.set _ZL22rocblas_geam_1D_deviceILi256EfPKfPfEvmT0_T1_llS3_S4_llT2_lli.has_recursion, 0
	.set _ZL22rocblas_geam_1D_deviceILi256EfPKfPfEvmT0_T1_llS3_S4_llT2_lli.has_indirect_call, 0
	.section	.AMDGPU.csdata,"",@progbits
; Kernel info:
; codeLenInByte = 464
; TotalNumSgprs: 32
; NumVgprs: 12
; ScratchSize: 0
; MemoryBound: 0
; FloatMode: 240
; IeeeMode: 1
; LDSByteSize: 0 bytes/workgroup (compile time only)
; SGPRBlocks: 0
; VGPRBlocks: 0
; NumSGPRsForWavesPerEU: 32
; NumVGPRsForWavesPerEU: 12
; NamedBarCnt: 0
; Occupancy: 16
; WaveLimiterHint : 0
; COMPUTE_PGM_RSRC2:SCRATCH_EN: 0
; COMPUTE_PGM_RSRC2:USER_SGPR: 2
; COMPUTE_PGM_RSRC2:TRAP_HANDLER: 0
; COMPUTE_PGM_RSRC2:TGID_X_EN: 1
; COMPUTE_PGM_RSRC2:TGID_Y_EN: 0
; COMPUTE_PGM_RSRC2:TGID_Z_EN: 1
; COMPUTE_PGM_RSRC2:TIDIG_COMP_CNT: 0
	.section	.text._ZL22rocblas_geam_1D_deviceILi256EPKfS1_PfEvmT0_T1_llS3_S4_llT2_lli,"axG",@progbits,_ZL22rocblas_geam_1D_deviceILi256EPKfS1_PfEvmT0_T1_llS3_S4_llT2_lli,comdat
	.globl	_ZL22rocblas_geam_1D_deviceILi256EPKfS1_PfEvmT0_T1_llS3_S4_llT2_lli ; -- Begin function _ZL22rocblas_geam_1D_deviceILi256EPKfS1_PfEvmT0_T1_llS3_S4_llT2_lli
	.p2align	8
	.type	_ZL22rocblas_geam_1D_deviceILi256EPKfS1_PfEvmT0_T1_llS3_S4_llT2_lli,@function
_ZL22rocblas_geam_1D_deviceILi256EPKfS1_PfEvmT0_T1_llS3_S4_llT2_lli: ; @_ZL22rocblas_geam_1D_deviceILi256EPKfS1_PfEvmT0_T1_llS3_S4_llT2_lli
; %bb.0:
	s_load_b32 s28, s[0:1], 0x60
	s_bfe_u32 s2, ttmp6, 0x40014
	s_lshr_b32 s3, ttmp7, 16
	s_add_co_i32 s2, s2, 1
	s_bfe_u32 s4, ttmp6, 0x40008
	s_mul_i32 s2, s3, s2
	s_getreg_b32 s29, hwreg(HW_REG_IB_STS2, 6, 4)
	s_add_co_i32 s4, s4, s2
	s_cmp_eq_u32 s29, 0
	s_cselect_b32 s2, s3, s4
	s_mov_b32 s3, 0
	s_wait_kmcnt 0x0
	s_cmp_ge_u32 s2, s28
	s_cbranch_scc1 .LBB6_12
; %bb.1:
	s_clause 0x1
	s_load_b32 s30, s[0:1], 0x74
	s_load_b512 s[4:19], s[0:1], 0x0
	s_bfe_u32 s31, ttmp6, 0x4000c
	s_load_b256 s[20:27], s[0:1], 0x40
	s_add_co_i32 s31, s31, 1
	s_wait_xcnt 0x0
	s_and_b32 s0, ttmp6, 15
	s_mul_i32 s1, ttmp9, s31
	v_mov_b32_e32 v1, 0
	s_add_co_i32 s0, s0, s1
	s_wait_kmcnt 0x0
	s_and_b32 s1, s30, 0xffff
	s_cmp_eq_u32 s29, 0
	s_cselect_b32 s0, ttmp9, s0
	s_lshl_b64 s[10:11], s[10:11], 2
	v_mad_nc_u64_u32 v[2:3], s1, s0, v[0:1]
	s_lshl_b64 s[0:1], s[24:25], 2
	s_lshl_b64 s[18:19], s[18:19], 2
	s_add_nc_u64 s[22:23], s[22:23], s[0:1]
	s_add_nc_u64 s[8:9], s[8:9], s[10:11]
	;; [unrolled: 1-line block ×3, first 2 shown]
	s_delay_alu instid0(VALU_DEP_1) | instskip(SKIP_1) | instid1(VALU_DEP_2)
	v_lshlrev_b64_e32 v[6:7], 2, v[2:3]
	v_cmp_gt_u64_e64 s0, s[4:5], v[2:3]
	v_add_nc_u64_e32 v[2:3], s[10:11], v[6:7]
	v_add_nc_u64_e32 v[4:5], s[8:9], v[6:7]
	;; [unrolled: 1-line block ×3, first 2 shown]
	s_branch .LBB6_6
.LBB6_2:                                ;   in Loop: Header=BB6_6 Depth=1
	s_mul_u64 s[8:9], s[12:13], s[2:3]
	s_wait_xcnt 0x0
	v_lshl_add_u64 v[10:11], s[8:9], 2, v[4:5]
	global_load_b32 v9, v[10:11], off
	s_wait_loadcnt 0x0
	v_mul_f32_e32 v0, v0, v9
.LBB6_3:                                ;   in Loop: Header=BB6_6 Depth=1
	s_delay_alu instid0(VALU_DEP_1)
	v_add_f32_e32 v9, v8, v0
.LBB6_4:                                ;   in Loop: Header=BB6_6 Depth=1
	s_mul_u64 s[8:9], s[26:27], s[2:3]
	s_wait_xcnt 0x0
	v_lshl_add_u64 v[10:11], s[8:9], 2, v[6:7]
	global_store_b32 v[10:11], v9, off
.LBB6_5:                                ;   in Loop: Header=BB6_6 Depth=1
	s_wait_xcnt 0x0
	s_or_b32 exec_lo, exec_lo, s4
	s_add_co_i32 s2, s2, 0x10000
	s_delay_alu instid0(SALU_CYCLE_1)
	s_cmp_lt_u32 s2, s28
	s_cbranch_scc0 .LBB6_12
.LBB6_6:                                ; =>This Inner Loop Header: Depth=1
	s_delay_alu instid0(VALU_DEP_4)
	s_and_saveexec_b32 s4, s0
	s_cbranch_execz .LBB6_5
; %bb.7:                                ;   in Loop: Header=BB6_6 Depth=1
	s_clause 0x1
	global_load_b32 v0, v1, s[6:7]
	global_load_b32 v8, v1, s[14:15]
	v_mov_b32_e32 v9, 0
	s_wait_loadcnt 0x1
	v_cmp_eq_f32_e32 vcc_lo, 0, v0
	s_wait_loadcnt 0x0
	v_cmp_eq_f32_e64 s1, 0, v8
	s_and_b32 s5, vcc_lo, s1
	s_delay_alu instid0(SALU_CYCLE_1)
	s_and_b32 vcc_lo, exec_lo, s5
	s_cbranch_vccnz .LBB6_4
; %bb.8:                                ;   in Loop: Header=BB6_6 Depth=1
	s_and_b32 vcc_lo, exec_lo, s1
	s_cbranch_vccnz .LBB6_10
; %bb.9:                                ;   in Loop: Header=BB6_6 Depth=1
	s_mul_u64 s[8:9], s[20:21], s[2:3]
	s_delay_alu instid0(SALU_CYCLE_1)
	v_lshl_add_u64 v[10:11], s[8:9], 2, v[2:3]
	global_load_b32 v9, v[10:11], off
	s_wait_loadcnt 0x0
	v_mul_f32_e32 v8, v8, v9
	v_cmp_eq_f32_e32 vcc_lo, 0, v0
	s_cbranch_vccz .LBB6_2
	s_branch .LBB6_11
.LBB6_10:                               ;   in Loop: Header=BB6_6 Depth=1
	v_mov_b32_e32 v8, 0
	v_cmp_eq_f32_e32 vcc_lo, 0, v0
	s_cbranch_vccz .LBB6_2
.LBB6_11:                               ;   in Loop: Header=BB6_6 Depth=1
	v_mov_b32_e32 v0, 0
	s_branch .LBB6_3
.LBB6_12:
	s_endpgm
	.section	.rodata,"a",@progbits
	.p2align	6, 0x0
	.amdhsa_kernel _ZL22rocblas_geam_1D_deviceILi256EPKfS1_PfEvmT0_T1_llS3_S4_llT2_lli
		.amdhsa_group_segment_fixed_size 0
		.amdhsa_private_segment_fixed_size 0
		.amdhsa_kernarg_size 360
		.amdhsa_user_sgpr_count 2
		.amdhsa_user_sgpr_dispatch_ptr 0
		.amdhsa_user_sgpr_queue_ptr 0
		.amdhsa_user_sgpr_kernarg_segment_ptr 1
		.amdhsa_user_sgpr_dispatch_id 0
		.amdhsa_user_sgpr_kernarg_preload_length 0
		.amdhsa_user_sgpr_kernarg_preload_offset 0
		.amdhsa_user_sgpr_private_segment_size 0
		.amdhsa_wavefront_size32 1
		.amdhsa_uses_dynamic_stack 0
		.amdhsa_enable_private_segment 0
		.amdhsa_system_sgpr_workgroup_id_x 1
		.amdhsa_system_sgpr_workgroup_id_y 0
		.amdhsa_system_sgpr_workgroup_id_z 1
		.amdhsa_system_sgpr_workgroup_info 0
		.amdhsa_system_vgpr_workitem_id 0
		.amdhsa_next_free_vgpr 12
		.amdhsa_next_free_sgpr 32
		.amdhsa_named_barrier_count 0
		.amdhsa_reserve_vcc 1
		.amdhsa_float_round_mode_32 0
		.amdhsa_float_round_mode_16_64 0
		.amdhsa_float_denorm_mode_32 3
		.amdhsa_float_denorm_mode_16_64 3
		.amdhsa_fp16_overflow 0
		.amdhsa_memory_ordered 1
		.amdhsa_forward_progress 1
		.amdhsa_inst_pref_size 4
		.amdhsa_round_robin_scheduling 0
		.amdhsa_exception_fp_ieee_invalid_op 0
		.amdhsa_exception_fp_denorm_src 0
		.amdhsa_exception_fp_ieee_div_zero 0
		.amdhsa_exception_fp_ieee_overflow 0
		.amdhsa_exception_fp_ieee_underflow 0
		.amdhsa_exception_fp_ieee_inexact 0
		.amdhsa_exception_int_div_zero 0
	.end_amdhsa_kernel
	.section	.text._ZL22rocblas_geam_1D_deviceILi256EPKfS1_PfEvmT0_T1_llS3_S4_llT2_lli,"axG",@progbits,_ZL22rocblas_geam_1D_deviceILi256EPKfS1_PfEvmT0_T1_llS3_S4_llT2_lli,comdat
.Lfunc_end6:
	.size	_ZL22rocblas_geam_1D_deviceILi256EPKfS1_PfEvmT0_T1_llS3_S4_llT2_lli, .Lfunc_end6-_ZL22rocblas_geam_1D_deviceILi256EPKfS1_PfEvmT0_T1_llS3_S4_llT2_lli
                                        ; -- End function
	.set _ZL22rocblas_geam_1D_deviceILi256EPKfS1_PfEvmT0_T1_llS3_S4_llT2_lli.num_vgpr, 12
	.set _ZL22rocblas_geam_1D_deviceILi256EPKfS1_PfEvmT0_T1_llS3_S4_llT2_lli.num_agpr, 0
	.set _ZL22rocblas_geam_1D_deviceILi256EPKfS1_PfEvmT0_T1_llS3_S4_llT2_lli.numbered_sgpr, 32
	.set _ZL22rocblas_geam_1D_deviceILi256EPKfS1_PfEvmT0_T1_llS3_S4_llT2_lli.num_named_barrier, 0
	.set _ZL22rocblas_geam_1D_deviceILi256EPKfS1_PfEvmT0_T1_llS3_S4_llT2_lli.private_seg_size, 0
	.set _ZL22rocblas_geam_1D_deviceILi256EPKfS1_PfEvmT0_T1_llS3_S4_llT2_lli.uses_vcc, 1
	.set _ZL22rocblas_geam_1D_deviceILi256EPKfS1_PfEvmT0_T1_llS3_S4_llT2_lli.uses_flat_scratch, 0
	.set _ZL22rocblas_geam_1D_deviceILi256EPKfS1_PfEvmT0_T1_llS3_S4_llT2_lli.has_dyn_sized_stack, 0
	.set _ZL22rocblas_geam_1D_deviceILi256EPKfS1_PfEvmT0_T1_llS3_S4_llT2_lli.has_recursion, 0
	.set _ZL22rocblas_geam_1D_deviceILi256EPKfS1_PfEvmT0_T1_llS3_S4_llT2_lli.has_indirect_call, 0
	.section	.AMDGPU.csdata,"",@progbits
; Kernel info:
; codeLenInByte = 472
; TotalNumSgprs: 34
; NumVgprs: 12
; ScratchSize: 0
; MemoryBound: 0
; FloatMode: 240
; IeeeMode: 1
; LDSByteSize: 0 bytes/workgroup (compile time only)
; SGPRBlocks: 0
; VGPRBlocks: 0
; NumSGPRsForWavesPerEU: 34
; NumVGPRsForWavesPerEU: 12
; NamedBarCnt: 0
; Occupancy: 16
; WaveLimiterHint : 0
; COMPUTE_PGM_RSRC2:SCRATCH_EN: 0
; COMPUTE_PGM_RSRC2:USER_SGPR: 2
; COMPUTE_PGM_RSRC2:TRAP_HANDLER: 0
; COMPUTE_PGM_RSRC2:TGID_X_EN: 1
; COMPUTE_PGM_RSRC2:TGID_Y_EN: 0
; COMPUTE_PGM_RSRC2:TGID_Z_EN: 1
; COMPUTE_PGM_RSRC2:TIDIG_COMP_CNT: 0
	.section	.text._ZL19rocblas_geam_deviceILi16ELi16EfPKfPfEv18rocblas_operation_S3_iiT1_T2_lllS4_S5_lllT3_llli,"axG",@progbits,_ZL19rocblas_geam_deviceILi16ELi16EfPKfPfEv18rocblas_operation_S3_iiT1_T2_lllS4_S5_lllT3_llli,comdat
	.globl	_ZL19rocblas_geam_deviceILi16ELi16EfPKfPfEv18rocblas_operation_S3_iiT1_T2_lllS4_S5_lllT3_llli ; -- Begin function _ZL19rocblas_geam_deviceILi16ELi16EfPKfPfEv18rocblas_operation_S3_iiT1_T2_lllS4_S5_lllT3_llli
	.p2align	8
	.type	_ZL19rocblas_geam_deviceILi16ELi16EfPKfPfEv18rocblas_operation_S3_iiT1_T2_lllS4_S5_lllT3_llli,@function
_ZL19rocblas_geam_deviceILi16ELi16EfPKfPfEv18rocblas_operation_S3_iiT1_T2_lllS4_S5_lllT3_llli: ; @_ZL19rocblas_geam_deviceILi16ELi16EfPKfPfEv18rocblas_operation_S3_iiT1_T2_lllS4_S5_lllT3_llli
; %bb.0:
	s_load_b32 s3, s[0:1], 0x80
	s_bfe_u32 s2, ttmp6, 0x40014
	s_lshr_b32 s4, ttmp7, 16
	s_add_co_i32 s2, s2, 1
	s_bfe_u32 s6, ttmp6, 0x40008
	s_mul_i32 s5, s4, s2
	s_getreg_b32 s2, hwreg(HW_REG_IB_STS2, 6, 4)
	s_add_co_i32 s6, s6, s5
	s_cmp_eq_u32 s2, 0
	s_mov_b32 s35, 0
	s_cselect_b32 s34, s4, s6
	s_wait_kmcnt 0x0
	s_cmp_ge_u32 s34, s3
	s_cbranch_scc1 .LBB7_9
; %bb.1:
	s_clause 0x1
	s_load_b128 s[28:31], s[0:1], 0x0
	s_load_b32 s36, s[0:1], 0x10
	s_bfe_u32 s39, ttmp6, 0x4000c
	s_and_b32 s40, ttmp6, 15
	s_add_co_i32 s39, s39, 1
	v_and_b32_e32 v2, 0x3ff, v0
	s_mul_i32 s39, ttmp9, s39
	s_delay_alu instid0(SALU_CYCLE_1) | instskip(SKIP_2) | instid1(SALU_CYCLE_1)
	s_add_co_i32 s40, s40, s39
	s_wait_kmcnt 0x0
	s_add_co_i32 s4, s30, -1
	s_ashr_i32 s5, s4, 31
	s_delay_alu instid0(SALU_CYCLE_1) | instskip(NEXT) | instid1(SALU_CYCLE_1)
	s_lshr_b32 s5, s5, 28
	s_add_co_i32 s4, s4, s5
	s_delay_alu instid0(SALU_CYCLE_1) | instskip(SKIP_4) | instid1(SALU_CYCLE_3)
	s_ashr_i32 s33, s4, 4
	s_load_b512 s[4:19], s[0:1], 0x40
	s_add_co_i32 s37, s33, 1
	s_not_b32 s33, s33
	s_cvt_f32_u32 s20, s37
	v_rcp_iflag_f32_e32 v1, s20
	s_load_b256 s[20:27], s[0:1], 0x18
	v_nop
	s_delay_alu instid0(TRANS32_DEP_1)
	v_readfirstlane_b32 s38, v1
	v_bfe_u32 v1, v0, 10, 10
	s_mul_f32 s38, s38, 0x4f7ffffe
	s_wait_kmcnt 0x0
	s_lshl_b64 s[6:7], s[6:7], 2
	s_lshl_b64 s[14:15], s[14:15], 2
	s_add_nc_u64 s[4:5], s[4:5], s[6:7]
	s_cvt_u32_f32 s38, s38
	s_delay_alu instid0(SALU_CYCLE_3)
	s_mul_i32 s33, s33, s38
	s_lshl_b64 s[22:23], s[22:23], 2
	s_mul_hi_u32 s33, s38, s33
	s_add_nc_u64 s[6:7], s[20:21], s[22:23]
	s_add_co_i32 s38, s38, s33
	s_cmp_eq_u32 s2, 0
	s_cselect_b32 s2, ttmp9, s40
	s_delay_alu instid0(SALU_CYCLE_1) | instskip(NEXT) | instid1(SALU_CYCLE_1)
	s_mul_hi_u32 s33, s2, s38
	s_mul_i32 s38, s33, s37
	s_add_co_i32 s39, s33, 1
	s_sub_co_i32 s38, s2, s38
	s_delay_alu instid0(SALU_CYCLE_1)
	s_sub_co_i32 s40, s38, s37
	s_cmp_ge_u32 s38, s37
	s_cselect_b32 s33, s39, s33
	s_cselect_b32 s38, s40, s38
	s_add_co_i32 s39, s33, 1
	s_cmp_ge_u32 s38, s37
	s_cselect_b32 s33, s39, s33
	s_delay_alu instid0(SALU_CYCLE_1) | instskip(SKIP_4) | instid1(VALU_DEP_2)
	s_mul_i32 s37, s33, s37
	v_lshl_add_u32 v0, s33, 4, v1
	s_sub_co_i32 s2, s2, s37
	s_load_b32 s37, s[0:1], 0x38
	v_lshl_add_u32 v2, s2, 4, v2
	v_ashrrev_i32_e32 v1, 31, v0
	v_cmp_gt_i32_e32 vcc_lo, s31, v0
	s_delay_alu instid0(VALU_DEP_3) | instskip(SKIP_1) | instid1(VALU_DEP_4)
	v_ashrrev_i32_e32 v3, 31, v2
	v_cmp_gt_i32_e64 s2, s30, v2
	v_mad_nc_u64_u32 v[4:5], s24, v2, v[0:1]
	v_mad_nc_u64_u32 v[6:7], s8, v2, v[0:1]
	v_mul_u64_e32 v[12:13], s[16:17], v[0:1]
	v_mad_nc_u64_u32 v[8:9], s24, v0, v[2:3]
	v_mad_nc_u64_u32 v[10:11], s8, v0, v[2:3]
	s_wait_xcnt 0x0
	s_and_b32 s1, s2, vcc_lo
	s_cmp_eq_u32 s28, 0x6f
	s_cselect_b32 vcc_lo, -1, 0
	s_cmp_eq_u32 s29, 0x6f
	v_mad_u32 v5, s25, v2, v5
	v_mad_u32 v7, s9, v2, v7
	s_cselect_b32 s0, -1, 0
	s_delay_alu instid0(VALU_DEP_4) | instskip(NEXT) | instid1(VALU_DEP_4)
	v_mad_u32 v9, s25, v0, v9
	v_mad_u32 v0, s9, v0, v11
	s_cmp_neq_f32 s36, 0
	v_dual_cndmask_b32 v8, v4, v8, vcc_lo :: v_dual_cndmask_b32 v4, v6, v10, s0
	s_cselect_b32 s2, -1, 0
	s_wait_kmcnt 0x0
	s_cmp_neq_f32 s37, 0
	v_mad_u32 v11, s24, v3, v5
	v_mad_u32 v5, s8, v3, v7
	;; [unrolled: 1-line block ×4, first 2 shown]
	s_add_nc_u64 s[8:9], s[12:13], s[14:15]
	s_delay_alu instid0(SALU_CYCLE_1) | instskip(NEXT) | instid1(VALU_DEP_2)
	v_lshl_add_u64 v[0:1], v[12:13], 2, s[8:9]
	v_dual_cndmask_b32 v5, v5, v9, s0 :: v_dual_cndmask_b32 v9, v11, v7, vcc_lo
	s_delay_alu instid0(VALU_DEP_2) | instskip(SKIP_1) | instid1(VALU_DEP_2)
	v_lshl_add_u64 v[0:1], v[2:3], 2, v[0:1]
	s_cselect_b32 s0, -1, 0
	v_lshl_add_u64 v[4:5], v[4:5], 2, s[4:5]
	s_delay_alu instid0(VALU_DEP_3)
	v_lshl_add_u64 v[2:3], v[8:9], 2, s[6:7]
	s_branch .LBB7_4
.LBB7_2:                                ;   in Loop: Header=BB7_4 Depth=1
	s_wait_xcnt 0x0
	v_mov_b64_e32 v[8:9], s[36:37]
	s_mul_u64 s[6:7], s[18:19], s[34:35]
	s_wait_loadcnt 0x0
	s_delay_alu instid0(VALU_DEP_1) | instskip(NEXT) | instid1(VALU_DEP_1)
	v_pk_mul_f32 v[6:7], v[8:9], v[6:7]
	v_add_f32_e32 v8, v6, v7
	v_lshl_add_u64 v[6:7], s[6:7], 2, v[0:1]
	global_store_b32 v[6:7], v8, off
.LBB7_3:                                ;   in Loop: Header=BB7_4 Depth=1
	s_wait_xcnt 0x0
	s_or_b32 exec_lo, exec_lo, s4
	s_add_co_i32 s34, s34, 0x10000
	s_delay_alu instid0(SALU_CYCLE_1)
	s_cmp_lt_u32 s34, s3
	s_cbranch_scc0 .LBB7_9
.LBB7_4:                                ; =>This Inner Loop Header: Depth=1
	s_and_saveexec_b32 s4, s1
	s_cbranch_execz .LBB7_3
; %bb.5:                                ;   in Loop: Header=BB7_4 Depth=1
	v_dual_mov_b32 v7, 0 :: v_dual_mov_b32 v6, 0
	s_and_not1_b32 vcc_lo, exec_lo, s2
	s_cbranch_vccnz .LBB7_7
; %bb.6:                                ;   in Loop: Header=BB7_4 Depth=1
	s_mul_u64 s[6:7], s[26:27], s[34:35]
	s_delay_alu instid0(SALU_CYCLE_1)
	v_lshl_add_u64 v[8:9], s[6:7], 2, v[2:3]
	global_load_b32 v6, v[8:9], off
.LBB7_7:                                ;   in Loop: Header=BB7_4 Depth=1
	s_and_not1_b32 vcc_lo, exec_lo, s0
	s_cbranch_vccnz .LBB7_2
; %bb.8:                                ;   in Loop: Header=BB7_4 Depth=1
	s_mul_u64 s[6:7], s[10:11], s[34:35]
	s_wait_xcnt 0x0
	v_lshl_add_u64 v[8:9], s[6:7], 2, v[4:5]
	global_load_b32 v7, v[8:9], off
	s_branch .LBB7_2
.LBB7_9:
	s_endpgm
	.section	.rodata,"a",@progbits
	.p2align	6, 0x0
	.amdhsa_kernel _ZL19rocblas_geam_deviceILi16ELi16EfPKfPfEv18rocblas_operation_S3_iiT1_T2_lllS4_S5_lllT3_llli
		.amdhsa_group_segment_fixed_size 0
		.amdhsa_private_segment_fixed_size 0
		.amdhsa_kernarg_size 132
		.amdhsa_user_sgpr_count 2
		.amdhsa_user_sgpr_dispatch_ptr 0
		.amdhsa_user_sgpr_queue_ptr 0
		.amdhsa_user_sgpr_kernarg_segment_ptr 1
		.amdhsa_user_sgpr_dispatch_id 0
		.amdhsa_user_sgpr_kernarg_preload_length 0
		.amdhsa_user_sgpr_kernarg_preload_offset 0
		.amdhsa_user_sgpr_private_segment_size 0
		.amdhsa_wavefront_size32 1
		.amdhsa_uses_dynamic_stack 0
		.amdhsa_enable_private_segment 0
		.amdhsa_system_sgpr_workgroup_id_x 1
		.amdhsa_system_sgpr_workgroup_id_y 0
		.amdhsa_system_sgpr_workgroup_id_z 1
		.amdhsa_system_sgpr_workgroup_info 0
		.amdhsa_system_vgpr_workitem_id 1
		.amdhsa_next_free_vgpr 14
		.amdhsa_next_free_sgpr 41
		.amdhsa_named_barrier_count 0
		.amdhsa_reserve_vcc 1
		.amdhsa_float_round_mode_32 0
		.amdhsa_float_round_mode_16_64 0
		.amdhsa_float_denorm_mode_32 3
		.amdhsa_float_denorm_mode_16_64 3
		.amdhsa_fp16_overflow 0
		.amdhsa_memory_ordered 1
		.amdhsa_forward_progress 1
		.amdhsa_inst_pref_size 7
		.amdhsa_round_robin_scheduling 0
		.amdhsa_exception_fp_ieee_invalid_op 0
		.amdhsa_exception_fp_denorm_src 0
		.amdhsa_exception_fp_ieee_div_zero 0
		.amdhsa_exception_fp_ieee_overflow 0
		.amdhsa_exception_fp_ieee_underflow 0
		.amdhsa_exception_fp_ieee_inexact 0
		.amdhsa_exception_int_div_zero 0
	.end_amdhsa_kernel
	.section	.text._ZL19rocblas_geam_deviceILi16ELi16EfPKfPfEv18rocblas_operation_S3_iiT1_T2_lllS4_S5_lllT3_llli,"axG",@progbits,_ZL19rocblas_geam_deviceILi16ELi16EfPKfPfEv18rocblas_operation_S3_iiT1_T2_lllS4_S5_lllT3_llli,comdat
.Lfunc_end7:
	.size	_ZL19rocblas_geam_deviceILi16ELi16EfPKfPfEv18rocblas_operation_S3_iiT1_T2_lllS4_S5_lllT3_llli, .Lfunc_end7-_ZL19rocblas_geam_deviceILi16ELi16EfPKfPfEv18rocblas_operation_S3_iiT1_T2_lllS4_S5_lllT3_llli
                                        ; -- End function
	.set _ZL19rocblas_geam_deviceILi16ELi16EfPKfPfEv18rocblas_operation_S3_iiT1_T2_lllS4_S5_lllT3_llli.num_vgpr, 14
	.set _ZL19rocblas_geam_deviceILi16ELi16EfPKfPfEv18rocblas_operation_S3_iiT1_T2_lllS4_S5_lllT3_llli.num_agpr, 0
	.set _ZL19rocblas_geam_deviceILi16ELi16EfPKfPfEv18rocblas_operation_S3_iiT1_T2_lllS4_S5_lllT3_llli.numbered_sgpr, 41
	.set _ZL19rocblas_geam_deviceILi16ELi16EfPKfPfEv18rocblas_operation_S3_iiT1_T2_lllS4_S5_lllT3_llli.num_named_barrier, 0
	.set _ZL19rocblas_geam_deviceILi16ELi16EfPKfPfEv18rocblas_operation_S3_iiT1_T2_lllS4_S5_lllT3_llli.private_seg_size, 0
	.set _ZL19rocblas_geam_deviceILi16ELi16EfPKfPfEv18rocblas_operation_S3_iiT1_T2_lllS4_S5_lllT3_llli.uses_vcc, 1
	.set _ZL19rocblas_geam_deviceILi16ELi16EfPKfPfEv18rocblas_operation_S3_iiT1_T2_lllS4_S5_lllT3_llli.uses_flat_scratch, 0
	.set _ZL19rocblas_geam_deviceILi16ELi16EfPKfPfEv18rocblas_operation_S3_iiT1_T2_lllS4_S5_lllT3_llli.has_dyn_sized_stack, 0
	.set _ZL19rocblas_geam_deviceILi16ELi16EfPKfPfEv18rocblas_operation_S3_iiT1_T2_lllS4_S5_lllT3_llli.has_recursion, 0
	.set _ZL19rocblas_geam_deviceILi16ELi16EfPKfPfEv18rocblas_operation_S3_iiT1_T2_lllS4_S5_lllT3_llli.has_indirect_call, 0
	.section	.AMDGPU.csdata,"",@progbits
; Kernel info:
; codeLenInByte = 788
; TotalNumSgprs: 43
; NumVgprs: 14
; ScratchSize: 0
; MemoryBound: 0
; FloatMode: 240
; IeeeMode: 1
; LDSByteSize: 0 bytes/workgroup (compile time only)
; SGPRBlocks: 0
; VGPRBlocks: 0
; NumSGPRsForWavesPerEU: 43
; NumVGPRsForWavesPerEU: 14
; NamedBarCnt: 0
; Occupancy: 16
; WaveLimiterHint : 0
; COMPUTE_PGM_RSRC2:SCRATCH_EN: 0
; COMPUTE_PGM_RSRC2:USER_SGPR: 2
; COMPUTE_PGM_RSRC2:TRAP_HANDLER: 0
; COMPUTE_PGM_RSRC2:TGID_X_EN: 1
; COMPUTE_PGM_RSRC2:TGID_Y_EN: 0
; COMPUTE_PGM_RSRC2:TGID_Z_EN: 1
; COMPUTE_PGM_RSRC2:TIDIG_COMP_CNT: 1
	.section	.text._ZL19rocblas_geam_deviceILi16ELi16EPKfS1_PfEv18rocblas_operation_S3_iiT1_T2_lllS4_S5_lllT3_llli,"axG",@progbits,_ZL19rocblas_geam_deviceILi16ELi16EPKfS1_PfEv18rocblas_operation_S3_iiT1_T2_lllS4_S5_lllT3_llli,comdat
	.globl	_ZL19rocblas_geam_deviceILi16ELi16EPKfS1_PfEv18rocblas_operation_S3_iiT1_T2_lllS4_S5_lllT3_llli ; -- Begin function _ZL19rocblas_geam_deviceILi16ELi16EPKfS1_PfEv18rocblas_operation_S3_iiT1_T2_lllS4_S5_lllT3_llli
	.p2align	8
	.type	_ZL19rocblas_geam_deviceILi16ELi16EPKfS1_PfEv18rocblas_operation_S3_iiT1_T2_lllS4_S5_lllT3_llli,@function
_ZL19rocblas_geam_deviceILi16ELi16EPKfS1_PfEv18rocblas_operation_S3_iiT1_T2_lllS4_S5_lllT3_llli: ; @_ZL19rocblas_geam_deviceILi16ELi16EPKfS1_PfEv18rocblas_operation_S3_iiT1_T2_lllS4_S5_lllT3_llli
; %bb.0:
	s_load_b32 s33, s[0:1], 0x80
	s_bfe_u32 s2, ttmp6, 0x40014
	s_lshr_b32 s3, ttmp7, 16
	s_add_co_i32 s2, s2, 1
	s_bfe_u32 s5, ttmp6, 0x40008
	s_mul_i32 s4, s3, s2
	s_getreg_b32 s2, hwreg(HW_REG_IB_STS2, 6, 4)
	s_add_co_i32 s5, s5, s4
	s_cmp_eq_u32 s2, 0
	s_mov_b32 s35, 0
	s_cselect_b32 s34, s3, s5
	s_wait_kmcnt 0x0
	s_cmp_ge_u32 s34, s33
	s_cbranch_scc1 .LBB8_10
; %bb.1:
	s_load_b128 s[28:31], s[0:1], 0x0
	s_bfe_u32 s38, ttmp6, 0x4000c
	s_and_b32 s39, ttmp6, 15
	s_add_co_i32 s38, s38, 1
	v_and_b32_e32 v2, 0x3ff, v0
	s_mul_i32 s38, ttmp9, s38
	s_delay_alu instid0(SALU_CYCLE_1) | instskip(SKIP_2) | instid1(SALU_CYCLE_1)
	s_add_co_i32 s39, s39, s38
	s_wait_kmcnt 0x0
	s_add_co_i32 s3, s30, -1
	s_ashr_i32 s4, s3, 31
	s_delay_alu instid0(SALU_CYCLE_1) | instskip(NEXT) | instid1(SALU_CYCLE_1)
	s_lshr_b32 s4, s4, 28
	s_add_co_i32 s3, s3, s4
	s_load_b512 s[4:19], s[0:1], 0x10
	s_ashr_i32 s3, s3, 4
	s_delay_alu instid0(SALU_CYCLE_1) | instskip(SKIP_2) | instid1(SALU_CYCLE_3)
	s_add_co_i32 s36, s3, 1
	s_not_b32 s3, s3
	s_cvt_f32_u32 s20, s36
	v_rcp_iflag_f32_e32 v1, s20
	s_load_b256 s[20:27], s[0:1], 0x50
	v_nop
	s_delay_alu instid0(TRANS32_DEP_1)
	v_readfirstlane_b32 s37, v1
	v_bfe_u32 v1, v0, 10, 10
	s_wait_kmcnt 0x0
	s_lshl_b64 s[18:19], s[18:19], 2
	s_mul_f32 s37, s37, 0x4f7ffffe
	s_lshl_b64 s[8:9], s[8:9], 2
	s_delay_alu instid0(SALU_CYCLE_1) | instskip(NEXT) | instid1(SALU_CYCLE_1)
	s_add_nc_u64 s[6:7], s[6:7], s[8:9]
	s_cvt_u32_f32 s37, s37
	s_delay_alu instid0(SALU_CYCLE_3) | instskip(SKIP_2) | instid1(SALU_CYCLE_1)
	s_mul_i32 s3, s3, s37
	s_lshl_b64 s[26:27], s[26:27], 2
	s_mul_hi_u32 s3, s37, s3
	s_add_co_i32 s37, s37, s3
	s_cmp_eq_u32 s2, 0
	s_load_b128 s[0:3], s[0:1], 0x70
	s_cselect_b32 s38, ttmp9, s39
	s_delay_alu instid0(SALU_CYCLE_1) | instskip(NEXT) | instid1(SALU_CYCLE_1)
	s_mul_hi_u32 s37, s38, s37
	s_mul_i32 s39, s37, s36
	s_add_co_i32 s40, s37, 1
	s_sub_co_i32 s39, s38, s39
	s_delay_alu instid0(SALU_CYCLE_1)
	s_sub_co_i32 s41, s39, s36
	s_cmp_ge_u32 s39, s36
	s_cselect_b32 s37, s40, s37
	s_cselect_b32 s39, s41, s39
	s_add_co_i32 s40, s37, 1
	s_cmp_ge_u32 s39, s36
	s_cselect_b32 s37, s40, s37
	s_delay_alu instid0(SALU_CYCLE_1) | instskip(SKIP_2) | instid1(SALU_CYCLE_1)
	s_mul_i32 s36, s37, s36
	v_lshl_add_u32 v0, s37, 4, v1
	s_sub_co_i32 s36, s38, s36
	v_lshl_add_u32 v2, s36, 4, v2
	s_delay_alu instid0(VALU_DEP_2) | instskip(SKIP_1) | instid1(VALU_DEP_3)
	v_ashrrev_i32_e32 v1, 31, v0
	v_cmp_gt_i32_e32 vcc_lo, s31, v0
	v_ashrrev_i32_e32 v3, 31, v2
	s_delay_alu instid0(VALU_DEP_3)
	v_mad_nc_u64_u32 v[6:7], s10, v2, v[0:1]
	v_mad_nc_u64_u32 v[8:9], s20, v2, v[0:1]
	s_wait_kmcnt 0x0
	v_mul_u64_e32 v[4:5], s[0:1], v[0:1]
	v_mad_nc_u64_u32 v[10:11], s20, v0, v[2:3]
	v_mad_nc_u64_u32 v[12:13], s10, v0, v[2:3]
	v_cmp_gt_i32_e64 s0, s30, v2
	s_and_b32 s1, s0, vcc_lo
	v_mad_u32 v7, s11, v2, v7
	v_mad_u32 v9, s21, v2, v9
	s_cmp_eq_u32 s28, 0x6f
	v_mad_u32 v11, s21, v0, v11
	v_mad_u32 v13, s11, v0, v13
	s_cselect_b32 vcc_lo, -1, 0
	s_cmp_eq_u32 s29, 0x6f
	s_cselect_b32 s0, -1, 0
	v_cndmask_b32_e32 v6, v6, v12, vcc_lo
	v_mad_u32 v7, s10, v3, v7
	v_mad_u32 v9, s20, v3, v9
	;; [unrolled: 1-line block ×4, first 2 shown]
	s_add_nc_u64 s[10:11], s[24:25], s[26:27]
	s_delay_alu instid0(SALU_CYCLE_1) | instskip(NEXT) | instid1(VALU_DEP_3)
	v_lshl_add_u64 v[0:1], v[4:5], 2, s[10:11]
	v_dual_cndmask_b32 v4, v8, v10, s0 :: v_dual_cndmask_b32 v5, v9, v11, s0
	s_delay_alu instid0(VALU_DEP_3) | instskip(SKIP_1) | instid1(VALU_DEP_3)
	v_cndmask_b32_e32 v7, v7, v13, vcc_lo
	s_add_nc_u64 s[10:11], s[16:17], s[18:19]
	v_lshl_add_u64 v[0:1], v[2:3], 2, v[0:1]
	v_mov_b32_e32 v10, 0
	v_lshl_add_u64 v[4:5], v[4:5], 2, s[10:11]
	v_lshl_add_u64 v[2:3], v[6:7], 2, s[6:7]
	s_branch .LBB8_5
.LBB8_2:                                ;   in Loop: Header=BB8_5 Depth=1
	s_mul_u64 s[6:7], s[22:23], s[34:35]
	s_delay_alu instid0(SALU_CYCLE_1)
	v_lshl_add_u64 v[12:13], s[6:7], 2, v[4:5]
	global_load_b32 v9, v[12:13], off
.LBB8_3:                                ;   in Loop: Header=BB8_5 Depth=1
	s_wait_loadcnt 0x0
	s_delay_alu instid0(VALU_DEP_1) | instskip(SKIP_1) | instid1(VALU_DEP_1)
	v_pk_mul_f32 v[6:7], v[6:7], v[8:9]
	s_mul_u64 s[6:7], s[2:3], s[34:35]
	v_add_f32_e32 v8, v6, v7
	v_lshl_add_u64 v[6:7], s[6:7], 2, v[0:1]
	global_store_b32 v[6:7], v8, off
.LBB8_4:                                ;   in Loop: Header=BB8_5 Depth=1
	s_wait_xcnt 0x0
	s_or_b32 exec_lo, exec_lo, s0
	s_add_co_i32 s34, s34, 0x10000
	s_delay_alu instid0(SALU_CYCLE_1)
	s_cmp_lt_u32 s34, s33
	s_cbranch_scc0 .LBB8_10
.LBB8_5:                                ; =>This Inner Loop Header: Depth=1
	s_and_saveexec_b32 s0, s1
	s_cbranch_execz .LBB8_4
; %bb.6:                                ;   in Loop: Header=BB8_5 Depth=1
	s_clause 0x1
	global_load_b32 v6, v10, s[4:5]
	global_load_b32 v7, v10, s[14:15]
	s_wait_loadcnt 0x1
	v_cmp_eq_f32_e32 vcc_lo, 0, v6
	s_cbranch_vccnz .LBB8_8
; %bb.7:                                ;   in Loop: Header=BB8_5 Depth=1
	s_mul_u64 s[6:7], s[12:13], s[34:35]
	s_delay_alu instid0(SALU_CYCLE_1)
	v_lshl_add_u64 v[8:9], s[6:7], 2, v[2:3]
	global_load_b32 v8, v[8:9], off
	s_wait_loadcnt 0x1
	v_cmp_eq_f32_e32 vcc_lo, 0, v7
	s_cbranch_vccz .LBB8_2
	s_branch .LBB8_9
.LBB8_8:                                ;   in Loop: Header=BB8_5 Depth=1
	v_mov_b32_e32 v8, 0
	s_wait_loadcnt 0x0
	v_cmp_eq_f32_e32 vcc_lo, 0, v7
	s_cbranch_vccz .LBB8_2
.LBB8_9:                                ;   in Loop: Header=BB8_5 Depth=1
	s_wait_xcnt 0x0
	v_mov_b32_e32 v9, 0
	s_branch .LBB8_3
.LBB8_10:
	s_endpgm
	.section	.rodata,"a",@progbits
	.p2align	6, 0x0
	.amdhsa_kernel _ZL19rocblas_geam_deviceILi16ELi16EPKfS1_PfEv18rocblas_operation_S3_iiT1_T2_lllS4_S5_lllT3_llli
		.amdhsa_group_segment_fixed_size 0
		.amdhsa_private_segment_fixed_size 0
		.amdhsa_kernarg_size 132
		.amdhsa_user_sgpr_count 2
		.amdhsa_user_sgpr_dispatch_ptr 0
		.amdhsa_user_sgpr_queue_ptr 0
		.amdhsa_user_sgpr_kernarg_segment_ptr 1
		.amdhsa_user_sgpr_dispatch_id 0
		.amdhsa_user_sgpr_kernarg_preload_length 0
		.amdhsa_user_sgpr_kernarg_preload_offset 0
		.amdhsa_user_sgpr_private_segment_size 0
		.amdhsa_wavefront_size32 1
		.amdhsa_uses_dynamic_stack 0
		.amdhsa_enable_private_segment 0
		.amdhsa_system_sgpr_workgroup_id_x 1
		.amdhsa_system_sgpr_workgroup_id_y 0
		.amdhsa_system_sgpr_workgroup_id_z 1
		.amdhsa_system_sgpr_workgroup_info 0
		.amdhsa_system_vgpr_workitem_id 1
		.amdhsa_next_free_vgpr 14
		.amdhsa_next_free_sgpr 42
		.amdhsa_named_barrier_count 0
		.amdhsa_reserve_vcc 1
		.amdhsa_float_round_mode_32 0
		.amdhsa_float_round_mode_16_64 0
		.amdhsa_float_denorm_mode_32 3
		.amdhsa_float_denorm_mode_16_64 3
		.amdhsa_fp16_overflow 0
		.amdhsa_memory_ordered 1
		.amdhsa_forward_progress 1
		.amdhsa_inst_pref_size 7
		.amdhsa_round_robin_scheduling 0
		.amdhsa_exception_fp_ieee_invalid_op 0
		.amdhsa_exception_fp_denorm_src 0
		.amdhsa_exception_fp_ieee_div_zero 0
		.amdhsa_exception_fp_ieee_overflow 0
		.amdhsa_exception_fp_ieee_underflow 0
		.amdhsa_exception_fp_ieee_inexact 0
		.amdhsa_exception_int_div_zero 0
	.end_amdhsa_kernel
	.section	.text._ZL19rocblas_geam_deviceILi16ELi16EPKfS1_PfEv18rocblas_operation_S3_iiT1_T2_lllS4_S5_lllT3_llli,"axG",@progbits,_ZL19rocblas_geam_deviceILi16ELi16EPKfS1_PfEv18rocblas_operation_S3_iiT1_T2_lllS4_S5_lllT3_llli,comdat
.Lfunc_end8:
	.size	_ZL19rocblas_geam_deviceILi16ELi16EPKfS1_PfEv18rocblas_operation_S3_iiT1_T2_lllS4_S5_lllT3_llli, .Lfunc_end8-_ZL19rocblas_geam_deviceILi16ELi16EPKfS1_PfEv18rocblas_operation_S3_iiT1_T2_lllS4_S5_lllT3_llli
                                        ; -- End function
	.set _ZL19rocblas_geam_deviceILi16ELi16EPKfS1_PfEv18rocblas_operation_S3_iiT1_T2_lllS4_S5_lllT3_llli.num_vgpr, 14
	.set _ZL19rocblas_geam_deviceILi16ELi16EPKfS1_PfEv18rocblas_operation_S3_iiT1_T2_lllS4_S5_lllT3_llli.num_agpr, 0
	.set _ZL19rocblas_geam_deviceILi16ELi16EPKfS1_PfEv18rocblas_operation_S3_iiT1_T2_lllS4_S5_lllT3_llli.numbered_sgpr, 42
	.set _ZL19rocblas_geam_deviceILi16ELi16EPKfS1_PfEv18rocblas_operation_S3_iiT1_T2_lllS4_S5_lllT3_llli.num_named_barrier, 0
	.set _ZL19rocblas_geam_deviceILi16ELi16EPKfS1_PfEv18rocblas_operation_S3_iiT1_T2_lllS4_S5_lllT3_llli.private_seg_size, 0
	.set _ZL19rocblas_geam_deviceILi16ELi16EPKfS1_PfEv18rocblas_operation_S3_iiT1_T2_lllS4_S5_lllT3_llli.uses_vcc, 1
	.set _ZL19rocblas_geam_deviceILi16ELi16EPKfS1_PfEv18rocblas_operation_S3_iiT1_T2_lllS4_S5_lllT3_llli.uses_flat_scratch, 0
	.set _ZL19rocblas_geam_deviceILi16ELi16EPKfS1_PfEv18rocblas_operation_S3_iiT1_T2_lllS4_S5_lllT3_llli.has_dyn_sized_stack, 0
	.set _ZL19rocblas_geam_deviceILi16ELi16EPKfS1_PfEv18rocblas_operation_S3_iiT1_T2_lllS4_S5_lllT3_llli.has_recursion, 0
	.set _ZL19rocblas_geam_deviceILi16ELi16EPKfS1_PfEv18rocblas_operation_S3_iiT1_T2_lllS4_S5_lllT3_llli.has_indirect_call, 0
	.section	.AMDGPU.csdata,"",@progbits
; Kernel info:
; codeLenInByte = 804
; TotalNumSgprs: 44
; NumVgprs: 14
; ScratchSize: 0
; MemoryBound: 0
; FloatMode: 240
; IeeeMode: 1
; LDSByteSize: 0 bytes/workgroup (compile time only)
; SGPRBlocks: 0
; VGPRBlocks: 0
; NumSGPRsForWavesPerEU: 44
; NumVGPRsForWavesPerEU: 14
; NamedBarCnt: 0
; Occupancy: 16
; WaveLimiterHint : 0
; COMPUTE_PGM_RSRC2:SCRATCH_EN: 0
; COMPUTE_PGM_RSRC2:USER_SGPR: 2
; COMPUTE_PGM_RSRC2:TRAP_HANDLER: 0
; COMPUTE_PGM_RSRC2:TGID_X_EN: 1
; COMPUTE_PGM_RSRC2:TGID_Y_EN: 0
; COMPUTE_PGM_RSRC2:TGID_Z_EN: 1
; COMPUTE_PGM_RSRC2:TIDIG_COMP_CNT: 1
	.section	.text._ZL31rocblas_geam_zero_matrix_deviceILi16ELi16EPdEviiT1_llli,"axG",@progbits,_ZL31rocblas_geam_zero_matrix_deviceILi16ELi16EPdEviiT1_llli,comdat
	.globl	_ZL31rocblas_geam_zero_matrix_deviceILi16ELi16EPdEviiT1_llli ; -- Begin function _ZL31rocblas_geam_zero_matrix_deviceILi16ELi16EPdEviiT1_llli
	.p2align	8
	.type	_ZL31rocblas_geam_zero_matrix_deviceILi16ELi16EPdEviiT1_llli,@function
_ZL31rocblas_geam_zero_matrix_deviceILi16ELi16EPdEviiT1_llli: ; @_ZL31rocblas_geam_zero_matrix_deviceILi16ELi16EPdEviiT1_llli
; %bb.0:
	s_load_b32 s12, s[0:1], 0x28
	s_bfe_u32 s2, ttmp6, 0x40014
	s_lshr_b32 s3, ttmp7, 16
	s_add_co_i32 s2, s2, 1
	s_bfe_u32 s4, ttmp6, 0x40008
	s_mul_i32 s2, s3, s2
	s_getreg_b32 s13, hwreg(HW_REG_IB_STS2, 6, 4)
	s_add_co_i32 s4, s4, s2
	s_cmp_eq_u32 s13, 0
	s_cselect_b32 s2, s3, s4
	s_mov_b32 s3, 0
	s_wait_kmcnt 0x0
	s_cmp_ge_u32 s2, s12
	s_cbranch_scc1 .LBB9_5
; %bb.1:
	s_load_b64 s[14:15], s[0:1], 0x0
	s_bfe_u32 s18, ttmp6, 0x4000c
	s_delay_alu instid0(SALU_CYCLE_1) | instskip(SKIP_2) | instid1(SALU_CYCLE_1)
	s_add_co_i32 s18, s18, 1
	s_wait_kmcnt 0x0
	s_add_co_i32 s4, s14, -1
	s_ashr_i32 s5, s4, 31
	s_delay_alu instid0(SALU_CYCLE_1) | instskip(NEXT) | instid1(SALU_CYCLE_1)
	s_lshr_b32 s5, s5, 28
	s_add_co_i32 s4, s4, s5
	s_delay_alu instid0(SALU_CYCLE_1) | instskip(NEXT) | instid1(SALU_CYCLE_1)
	s_ashr_i32 s16, s4, 4
	s_add_co_i32 s17, s16, 1
	s_delay_alu instid0(SALU_CYCLE_1) | instskip(NEXT) | instid1(SALU_CYCLE_3)
	s_cvt_f32_u32 s4, s17
	v_rcp_iflag_f32_e32 v1, s4
	s_load_b256 s[4:11], s[0:1], 0x8
	s_wait_xcnt 0x0
	s_and_b32 s1, ttmp6, 15
	v_nop
	s_delay_alu instid0(TRANS32_DEP_1) | instskip(SKIP_3) | instid1(SALU_CYCLE_3)
	v_readfirstlane_b32 s0, v1
	v_bfe_u32 v1, v0, 10, 10
	v_and_b32_e32 v0, 0x3ff, v0
	s_mul_f32 s0, s0, 0x4f7ffffe
	s_cvt_u32_f32 s19, s0
	s_not_b32 s0, s16
	s_mul_i32 s16, ttmp9, s18
	s_delay_alu instid0(SALU_CYCLE_1) | instskip(SKIP_1) | instid1(SALU_CYCLE_1)
	s_add_co_i32 s16, s1, s16
	s_mul_i32 s0, s0, s19
	s_mul_hi_u32 s18, s19, s0
	s_wait_kmcnt 0x0
	s_lshl_b64 s[0:1], s[6:7], 3
	s_add_co_i32 s19, s19, s18
	s_cmp_eq_u32 s13, 0
	s_add_nc_u64 s[0:1], s[4:5], s[0:1]
	s_cselect_b32 s6, ttmp9, s16
	s_delay_alu instid0(SALU_CYCLE_1) | instskip(NEXT) | instid1(SALU_CYCLE_1)
	s_mul_hi_u32 s7, s6, s19
	s_mul_i32 s13, s7, s17
	s_add_co_i32 s16, s7, 1
	s_sub_co_i32 s13, s6, s13
	s_delay_alu instid0(SALU_CYCLE_1)
	s_sub_co_i32 s18, s13, s17
	s_cmp_ge_u32 s13, s17
	s_cselect_b32 s7, s16, s7
	s_cselect_b32 s13, s18, s13
	s_add_co_i32 s16, s7, 1
	s_cmp_ge_u32 s13, s17
	s_cselect_b32 s7, s16, s7
	s_delay_alu instid0(SALU_CYCLE_1) | instskip(SKIP_1) | instid1(SALU_CYCLE_1)
	v_lshl_add_u32 v2, s7, 4, v1
	s_mul_i32 s7, s7, s17
	s_sub_co_i32 s6, s6, s7
	s_delay_alu instid0(VALU_DEP_1) | instskip(SKIP_2) | instid1(VALU_DEP_3)
	v_ashrrev_i32_e32 v3, 31, v2
	v_lshl_add_u32 v6, s6, 4, v0
	v_mov_b64_e32 v[0:1], 0
	v_mul_u64_e32 v[4:5], s[8:9], v[2:3]
	s_delay_alu instid0(VALU_DEP_3) | instskip(SKIP_1) | instid1(VALU_DEP_3)
	v_ashrrev_i32_e32 v7, 31, v6
	v_cmp_gt_i32_e32 vcc_lo, s14, v6
	v_lshl_add_u64 v[4:5], v[4:5], 3, s[0:1]
	v_cmp_gt_i32_e64 s0, s15, v2
	s_delay_alu instid0(VALU_DEP_2)
	v_lshl_add_u64 v[2:3], v[6:7], 3, v[4:5]
	s_and_b32 s0, vcc_lo, s0
	s_branch .LBB9_3
.LBB9_2:                                ;   in Loop: Header=BB9_3 Depth=1
	s_wait_xcnt 0x0
	s_or_b32 exec_lo, exec_lo, s1
	s_add_co_i32 s2, s2, 0x10000
	s_delay_alu instid0(SALU_CYCLE_1)
	s_cmp_lt_u32 s2, s12
	s_cbranch_scc0 .LBB9_5
.LBB9_3:                                ; =>This Inner Loop Header: Depth=1
	s_and_saveexec_b32 s1, s0
	s_cbranch_execz .LBB9_2
; %bb.4:                                ;   in Loop: Header=BB9_3 Depth=1
	s_mul_u64 s[4:5], s[10:11], s[2:3]
	s_delay_alu instid0(SALU_CYCLE_1)
	v_lshl_add_u64 v[4:5], s[4:5], 3, v[2:3]
	global_store_b64 v[4:5], v[0:1], off
	s_branch .LBB9_2
.LBB9_5:
	s_endpgm
	.section	.rodata,"a",@progbits
	.p2align	6, 0x0
	.amdhsa_kernel _ZL31rocblas_geam_zero_matrix_deviceILi16ELi16EPdEviiT1_llli
		.amdhsa_group_segment_fixed_size 0
		.amdhsa_private_segment_fixed_size 0
		.amdhsa_kernarg_size 44
		.amdhsa_user_sgpr_count 2
		.amdhsa_user_sgpr_dispatch_ptr 0
		.amdhsa_user_sgpr_queue_ptr 0
		.amdhsa_user_sgpr_kernarg_segment_ptr 1
		.amdhsa_user_sgpr_dispatch_id 0
		.amdhsa_user_sgpr_kernarg_preload_length 0
		.amdhsa_user_sgpr_kernarg_preload_offset 0
		.amdhsa_user_sgpr_private_segment_size 0
		.amdhsa_wavefront_size32 1
		.amdhsa_uses_dynamic_stack 0
		.amdhsa_enable_private_segment 0
		.amdhsa_system_sgpr_workgroup_id_x 1
		.amdhsa_system_sgpr_workgroup_id_y 0
		.amdhsa_system_sgpr_workgroup_id_z 1
		.amdhsa_system_sgpr_workgroup_info 0
		.amdhsa_system_vgpr_workitem_id 1
		.amdhsa_next_free_vgpr 8
		.amdhsa_next_free_sgpr 20
		.amdhsa_named_barrier_count 0
		.amdhsa_reserve_vcc 1
		.amdhsa_float_round_mode_32 0
		.amdhsa_float_round_mode_16_64 0
		.amdhsa_float_denorm_mode_32 3
		.amdhsa_float_denorm_mode_16_64 3
		.amdhsa_fp16_overflow 0
		.amdhsa_memory_ordered 1
		.amdhsa_forward_progress 1
		.amdhsa_inst_pref_size 4
		.amdhsa_round_robin_scheduling 0
		.amdhsa_exception_fp_ieee_invalid_op 0
		.amdhsa_exception_fp_denorm_src 0
		.amdhsa_exception_fp_ieee_div_zero 0
		.amdhsa_exception_fp_ieee_overflow 0
		.amdhsa_exception_fp_ieee_underflow 0
		.amdhsa_exception_fp_ieee_inexact 0
		.amdhsa_exception_int_div_zero 0
	.end_amdhsa_kernel
	.section	.text._ZL31rocblas_geam_zero_matrix_deviceILi16ELi16EPdEviiT1_llli,"axG",@progbits,_ZL31rocblas_geam_zero_matrix_deviceILi16ELi16EPdEviiT1_llli,comdat
.Lfunc_end9:
	.size	_ZL31rocblas_geam_zero_matrix_deviceILi16ELi16EPdEviiT1_llli, .Lfunc_end9-_ZL31rocblas_geam_zero_matrix_deviceILi16ELi16EPdEviiT1_llli
                                        ; -- End function
	.set _ZL31rocblas_geam_zero_matrix_deviceILi16ELi16EPdEviiT1_llli.num_vgpr, 8
	.set _ZL31rocblas_geam_zero_matrix_deviceILi16ELi16EPdEviiT1_llli.num_agpr, 0
	.set _ZL31rocblas_geam_zero_matrix_deviceILi16ELi16EPdEviiT1_llli.numbered_sgpr, 20
	.set _ZL31rocblas_geam_zero_matrix_deviceILi16ELi16EPdEviiT1_llli.num_named_barrier, 0
	.set _ZL31rocblas_geam_zero_matrix_deviceILi16ELi16EPdEviiT1_llli.private_seg_size, 0
	.set _ZL31rocblas_geam_zero_matrix_deviceILi16ELi16EPdEviiT1_llli.uses_vcc, 1
	.set _ZL31rocblas_geam_zero_matrix_deviceILi16ELi16EPdEviiT1_llli.uses_flat_scratch, 0
	.set _ZL31rocblas_geam_zero_matrix_deviceILi16ELi16EPdEviiT1_llli.has_dyn_sized_stack, 0
	.set _ZL31rocblas_geam_zero_matrix_deviceILi16ELi16EPdEviiT1_llli.has_recursion, 0
	.set _ZL31rocblas_geam_zero_matrix_deviceILi16ELi16EPdEviiT1_llli.has_indirect_call, 0
	.section	.AMDGPU.csdata,"",@progbits
; Kernel info:
; codeLenInByte = 460
; TotalNumSgprs: 22
; NumVgprs: 8
; ScratchSize: 0
; MemoryBound: 0
; FloatMode: 240
; IeeeMode: 1
; LDSByteSize: 0 bytes/workgroup (compile time only)
; SGPRBlocks: 0
; VGPRBlocks: 0
; NumSGPRsForWavesPerEU: 22
; NumVGPRsForWavesPerEU: 8
; NamedBarCnt: 0
; Occupancy: 16
; WaveLimiterHint : 0
; COMPUTE_PGM_RSRC2:SCRATCH_EN: 0
; COMPUTE_PGM_RSRC2:USER_SGPR: 2
; COMPUTE_PGM_RSRC2:TRAP_HANDLER: 0
; COMPUTE_PGM_RSRC2:TGID_X_EN: 1
; COMPUTE_PGM_RSRC2:TGID_Y_EN: 0
; COMPUTE_PGM_RSRC2:TGID_Z_EN: 1
; COMPUTE_PGM_RSRC2:TIDIG_COMP_CNT: 1
	.section	.text._ZL27rocblas_geam_inplace_deviceILi16ELi16EdPKdPdEv18rocblas_operation_iiT1_S4_T2_lllT3_llli,"axG",@progbits,_ZL27rocblas_geam_inplace_deviceILi16ELi16EdPKdPdEv18rocblas_operation_iiT1_S4_T2_lllT3_llli,comdat
	.globl	_ZL27rocblas_geam_inplace_deviceILi16ELi16EdPKdPdEv18rocblas_operation_iiT1_S4_T2_lllT3_llli ; -- Begin function _ZL27rocblas_geam_inplace_deviceILi16ELi16EdPKdPdEv18rocblas_operation_iiT1_S4_T2_lllT3_llli
	.p2align	8
	.type	_ZL27rocblas_geam_inplace_deviceILi16ELi16EdPKdPdEv18rocblas_operation_iiT1_S4_T2_lllT3_llli,@function
_ZL27rocblas_geam_inplace_deviceILi16ELi16EdPKdPdEv18rocblas_operation_iiT1_S4_T2_lllT3_llli: ; @_ZL27rocblas_geam_inplace_deviceILi16ELi16EdPKdPdEv18rocblas_operation_iiT1_S4_T2_lllT3_llli
; %bb.0:
	s_load_b32 s27, s[0:1], 0x60
	s_bfe_u32 s2, ttmp6, 0x40014
	s_lshr_b32 s3, ttmp7, 16
	s_add_co_i32 s2, s2, 1
	s_bfe_u32 s4, ttmp6, 0x40008
	s_mul_i32 s2, s3, s2
	s_getreg_b32 s20, hwreg(HW_REG_IB_STS2, 6, 4)
	s_add_co_i32 s4, s4, s2
	s_cmp_eq_u32 s20, 0
	s_cselect_b32 s2, s3, s4
	s_mov_b32 s3, 0
	s_wait_kmcnt 0x0
	s_cmp_ge_u32 s2, s27
	s_cbranch_scc1 .LBB10_15
; %bb.1:
	s_load_b96 s[24:26], s[0:1], 0x0
	s_bfe_u32 s28, ttmp6, 0x4000c
	s_and_b32 s29, ttmp6, 15
	s_add_co_i32 s28, s28, 1
	s_delay_alu instid0(SALU_CYCLE_1) | instskip(NEXT) | instid1(SALU_CYCLE_1)
	s_mul_i32 s28, ttmp9, s28
	s_add_co_i32 s30, s29, s28
	s_wait_kmcnt 0x0
	s_add_co_i32 s4, s25, -1
	s_delay_alu instid0(SALU_CYCLE_1) | instskip(NEXT) | instid1(SALU_CYCLE_1)
	s_ashr_i32 s5, s4, 31
	s_lshr_b32 s5, s5, 28
	s_delay_alu instid0(SALU_CYCLE_1) | instskip(NEXT) | instid1(SALU_CYCLE_1)
	s_add_co_i32 s4, s4, s5
	s_ashr_i32 s21, s4, 4
	s_delay_alu instid0(SALU_CYCLE_1) | instskip(SKIP_2) | instid1(SALU_CYCLE_3)
	s_add_co_i32 s22, s21, 1
	s_not_b32 s21, s21
	s_cvt_f32_u32 s4, s22
	v_rcp_iflag_f32_e32 v1, s4
	s_load_b512 s[4:19], s[0:1], 0x10
	v_nop
	s_delay_alu instid0(TRANS32_DEP_1) | instskip(SKIP_3) | instid1(SALU_CYCLE_3)
	v_readfirstlane_b32 s23, v1
	v_bfe_u32 v1, v0, 10, 10
	v_and_b32_e32 v0, 0x3ff, v0
	s_mul_f32 s23, s23, 0x4f7ffffe
	s_cvt_u32_f32 s23, s23
	s_delay_alu instid0(SALU_CYCLE_3)
	s_mul_i32 s21, s21, s23
	s_wait_kmcnt 0x0
	s_lshl_b64 s[18:19], s[18:19], 3
	s_mul_hi_u32 s21, s23, s21
	s_lshl_b64 s[28:29], s[10:11], 3
	s_add_co_i32 s23, s23, s21
	s_cmp_eq_u32 s20, 0
	s_cselect_b32 s10, ttmp9, s30
	s_delay_alu instid0(SALU_CYCLE_1) | instskip(NEXT) | instid1(SALU_CYCLE_1)
	s_mul_hi_u32 s11, s10, s23
	s_mul_i32 s20, s11, s22
	s_add_co_i32 s21, s11, 1
	s_sub_co_i32 s20, s10, s20
	s_delay_alu instid0(SALU_CYCLE_1)
	s_sub_co_i32 s23, s20, s22
	s_cmp_ge_u32 s20, s22
	s_cselect_b32 s11, s21, s11
	s_cselect_b32 s20, s23, s20
	s_add_co_i32 s21, s11, 1
	s_cmp_ge_u32 s20, s22
	s_cselect_b32 s11, s21, s11
	s_delay_alu instid0(SALU_CYCLE_1)
	s_mul_i32 s20, s11, s22
	v_lshl_add_u32 v2, s11, 4, v1
	s_sub_co_i32 s10, s10, s20
	s_load_b128 s[20:23], s[0:1], 0x50
	v_lshl_add_u32 v4, s10, 4, v0
	v_cmp_neq_f64_e64 s10, s[6:7], 0
	v_ashrrev_i32_e32 v3, 31, v2
	v_cmp_gt_i32_e32 vcc_lo, s26, v2
	s_delay_alu instid0(VALU_DEP_4) | instskip(SKIP_3) | instid1(VALU_DEP_3)
	v_ashrrev_i32_e32 v5, 31, v4
	s_wait_xcnt 0x0
	v_cmp_gt_i32_e64 s0, s25, v4
	v_mad_nc_u64_u32 v[6:7], s12, v4, v[2:3]
	v_mad_nc_u64_u32 v[8:9], s12, v2, v[4:5]
	s_and_b32 s11, s0, vcc_lo
	s_add_nc_u64 s[0:1], s[8:9], s[28:29]
	v_cmp_neq_f64_e64 s8, s[4:5], 0
	s_cmp_eq_u32 s24, 0x6f
	s_cselect_b32 vcc_lo, -1, 0
	v_mad_u32 v7, s13, v4, v7
	s_wait_kmcnt 0x0
	v_mad_nc_u64_u32 v[0:1], s20, v2, v[4:5]
	v_mad_u32 v9, s13, v2, v9
	v_cndmask_b32_e32 v4, v6, v8, vcc_lo
	s_delay_alu instid0(VALU_DEP_4) | instskip(NEXT) | instid1(VALU_DEP_4)
	v_mad_u32 v5, s12, v5, v7
	v_mad_u32 v1, s21, v2, v1
	s_delay_alu instid0(VALU_DEP_4) | instskip(NEXT) | instid1(VALU_DEP_2)
	v_mad_u32 v7, s12, v3, v9
	v_mad_u32 v1, s20, v3, v1
	s_delay_alu instid0(VALU_DEP_2) | instskip(NEXT) | instid1(VALU_DEP_1)
	v_cndmask_b32_e32 v5, v5, v7, vcc_lo
	v_lshl_add_u64 v[2:3], v[4:5], 3, s[0:1]
	s_add_nc_u64 s[0:1], s[16:17], s[18:19]
	s_branch .LBB10_5
.LBB10_2:                               ;   in Loop: Header=BB10_5 Depth=1
	global_load_b64 v[6:7], v[4:5], off
	s_wait_loadcnt 0x0
	v_mul_f64_e32 v[6:7], s[4:5], v[6:7]
.LBB10_3:                               ;   in Loop: Header=BB10_5 Depth=1
	global_store_b64 v[4:5], v[6:7], off
.LBB10_4:                               ;   in Loop: Header=BB10_5 Depth=1
	s_wait_xcnt 0x0
	s_or_b32 exec_lo, exec_lo, s9
	s_add_co_i32 s2, s2, 0x10000
	s_delay_alu instid0(SALU_CYCLE_1)
	s_cmp_lt_u32 s2, s27
	s_cbranch_scc0 .LBB10_15
.LBB10_5:                               ; =>This Inner Loop Header: Depth=1
	s_and_saveexec_b32 s9, s11
	s_cbranch_execz .LBB10_4
; %bb.6:                                ;   in Loop: Header=BB10_5 Depth=1
	s_mul_u64 s[12:13], s[22:23], s[2:3]
	s_and_b32 vcc_lo, exec_lo, s10
	s_lshl_b64 s[12:13], s[12:13], 3
	s_delay_alu instid0(SALU_CYCLE_1) | instskip(NEXT) | instid1(SALU_CYCLE_1)
	s_add_nc_u64 s[12:13], s[0:1], s[12:13]
	v_lshl_add_u64 v[4:5], v[0:1], 3, s[12:13]
	s_cbranch_vccz .LBB10_11
; %bb.7:                                ;   in Loop: Header=BB10_5 Depth=1
	s_mul_u64 s[12:13], s[14:15], s[2:3]
	s_and_b32 vcc_lo, exec_lo, s8
	v_lshl_add_u64 v[6:7], s[12:13], 3, v[2:3]
	global_load_b64 v[6:7], v[6:7], off
	s_wait_loadcnt 0x0
	s_wait_xcnt 0x0
	v_mul_f64_e32 v[6:7], s[6:7], v[6:7]
	s_cbranch_vccz .LBB10_14
; %bb.8:                                ;   in Loop: Header=BB10_5 Depth=1
	global_load_b64 v[8:9], v[4:5], off
	s_wait_loadcnt 0x0
	v_fma_f64 v[8:9], s[4:5], v[8:9], v[6:7]
	global_store_b64 v[4:5], v[8:9], off
	s_cbranch_execnz .LBB10_10
.LBB10_9:                               ;   in Loop: Header=BB10_5 Depth=1
	global_store_b64 v[4:5], v[6:7], off
.LBB10_10:                              ;   in Loop: Header=BB10_5 Depth=1
	s_cbranch_execnz .LBB10_4
	s_branch .LBB10_12
.LBB10_11:                              ;   in Loop: Header=BB10_5 Depth=1
.LBB10_12:                              ;   in Loop: Header=BB10_5 Depth=1
	s_and_not1_b32 vcc_lo, exec_lo, s8
	s_cbranch_vccz .LBB10_2
; %bb.13:                               ;   in Loop: Header=BB10_5 Depth=1
	s_wait_xcnt 0x0
	v_mov_b64_e32 v[6:7], 0
	s_branch .LBB10_3
.LBB10_14:                              ;   in Loop: Header=BB10_5 Depth=1
	s_branch .LBB10_9
.LBB10_15:
	s_endpgm
	.section	.rodata,"a",@progbits
	.p2align	6, 0x0
	.amdhsa_kernel _ZL27rocblas_geam_inplace_deviceILi16ELi16EdPKdPdEv18rocblas_operation_iiT1_S4_T2_lllT3_llli
		.amdhsa_group_segment_fixed_size 0
		.amdhsa_private_segment_fixed_size 0
		.amdhsa_kernarg_size 100
		.amdhsa_user_sgpr_count 2
		.amdhsa_user_sgpr_dispatch_ptr 0
		.amdhsa_user_sgpr_queue_ptr 0
		.amdhsa_user_sgpr_kernarg_segment_ptr 1
		.amdhsa_user_sgpr_dispatch_id 0
		.amdhsa_user_sgpr_kernarg_preload_length 0
		.amdhsa_user_sgpr_kernarg_preload_offset 0
		.amdhsa_user_sgpr_private_segment_size 0
		.amdhsa_wavefront_size32 1
		.amdhsa_uses_dynamic_stack 0
		.amdhsa_enable_private_segment 0
		.amdhsa_system_sgpr_workgroup_id_x 1
		.amdhsa_system_sgpr_workgroup_id_y 0
		.amdhsa_system_sgpr_workgroup_id_z 1
		.amdhsa_system_sgpr_workgroup_info 0
		.amdhsa_system_vgpr_workitem_id 1
		.amdhsa_next_free_vgpr 10
		.amdhsa_next_free_sgpr 31
		.amdhsa_named_barrier_count 0
		.amdhsa_reserve_vcc 1
		.amdhsa_float_round_mode_32 0
		.amdhsa_float_round_mode_16_64 0
		.amdhsa_float_denorm_mode_32 3
		.amdhsa_float_denorm_mode_16_64 3
		.amdhsa_fp16_overflow 0
		.amdhsa_memory_ordered 1
		.amdhsa_forward_progress 1
		.amdhsa_inst_pref_size 6
		.amdhsa_round_robin_scheduling 0
		.amdhsa_exception_fp_ieee_invalid_op 0
		.amdhsa_exception_fp_denorm_src 0
		.amdhsa_exception_fp_ieee_div_zero 0
		.amdhsa_exception_fp_ieee_overflow 0
		.amdhsa_exception_fp_ieee_underflow 0
		.amdhsa_exception_fp_ieee_inexact 0
		.amdhsa_exception_int_div_zero 0
	.end_amdhsa_kernel
	.section	.text._ZL27rocblas_geam_inplace_deviceILi16ELi16EdPKdPdEv18rocblas_operation_iiT1_S4_T2_lllT3_llli,"axG",@progbits,_ZL27rocblas_geam_inplace_deviceILi16ELi16EdPKdPdEv18rocblas_operation_iiT1_S4_T2_lllT3_llli,comdat
.Lfunc_end10:
	.size	_ZL27rocblas_geam_inplace_deviceILi16ELi16EdPKdPdEv18rocblas_operation_iiT1_S4_T2_lllT3_llli, .Lfunc_end10-_ZL27rocblas_geam_inplace_deviceILi16ELi16EdPKdPdEv18rocblas_operation_iiT1_S4_T2_lllT3_llli
                                        ; -- End function
	.set _ZL27rocblas_geam_inplace_deviceILi16ELi16EdPKdPdEv18rocblas_operation_iiT1_S4_T2_lllT3_llli.num_vgpr, 10
	.set _ZL27rocblas_geam_inplace_deviceILi16ELi16EdPKdPdEv18rocblas_operation_iiT1_S4_T2_lllT3_llli.num_agpr, 0
	.set _ZL27rocblas_geam_inplace_deviceILi16ELi16EdPKdPdEv18rocblas_operation_iiT1_S4_T2_lllT3_llli.numbered_sgpr, 31
	.set _ZL27rocblas_geam_inplace_deviceILi16ELi16EdPKdPdEv18rocblas_operation_iiT1_S4_T2_lllT3_llli.num_named_barrier, 0
	.set _ZL27rocblas_geam_inplace_deviceILi16ELi16EdPKdPdEv18rocblas_operation_iiT1_S4_T2_lllT3_llli.private_seg_size, 0
	.set _ZL27rocblas_geam_inplace_deviceILi16ELi16EdPKdPdEv18rocblas_operation_iiT1_S4_T2_lllT3_llli.uses_vcc, 1
	.set _ZL27rocblas_geam_inplace_deviceILi16ELi16EdPKdPdEv18rocblas_operation_iiT1_S4_T2_lllT3_llli.uses_flat_scratch, 0
	.set _ZL27rocblas_geam_inplace_deviceILi16ELi16EdPKdPdEv18rocblas_operation_iiT1_S4_T2_lllT3_llli.has_dyn_sized_stack, 0
	.set _ZL27rocblas_geam_inplace_deviceILi16ELi16EdPKdPdEv18rocblas_operation_iiT1_S4_T2_lllT3_llli.has_recursion, 0
	.set _ZL27rocblas_geam_inplace_deviceILi16ELi16EdPKdPdEv18rocblas_operation_iiT1_S4_T2_lllT3_llli.has_indirect_call, 0
	.section	.AMDGPU.csdata,"",@progbits
; Kernel info:
; codeLenInByte = 736
; TotalNumSgprs: 33
; NumVgprs: 10
; ScratchSize: 0
; MemoryBound: 0
; FloatMode: 240
; IeeeMode: 1
; LDSByteSize: 0 bytes/workgroup (compile time only)
; SGPRBlocks: 0
; VGPRBlocks: 0
; NumSGPRsForWavesPerEU: 33
; NumVGPRsForWavesPerEU: 10
; NamedBarCnt: 0
; Occupancy: 16
; WaveLimiterHint : 0
; COMPUTE_PGM_RSRC2:SCRATCH_EN: 0
; COMPUTE_PGM_RSRC2:USER_SGPR: 2
; COMPUTE_PGM_RSRC2:TRAP_HANDLER: 0
; COMPUTE_PGM_RSRC2:TGID_X_EN: 1
; COMPUTE_PGM_RSRC2:TGID_Y_EN: 0
; COMPUTE_PGM_RSRC2:TGID_Z_EN: 1
; COMPUTE_PGM_RSRC2:TIDIG_COMP_CNT: 1
	.section	.text._ZL27rocblas_geam_inplace_deviceILi16ELi16EPKdS1_PdEv18rocblas_operation_iiT1_S4_T2_lllT3_llli,"axG",@progbits,_ZL27rocblas_geam_inplace_deviceILi16ELi16EPKdS1_PdEv18rocblas_operation_iiT1_S4_T2_lllT3_llli,comdat
	.globl	_ZL27rocblas_geam_inplace_deviceILi16ELi16EPKdS1_PdEv18rocblas_operation_iiT1_S4_T2_lllT3_llli ; -- Begin function _ZL27rocblas_geam_inplace_deviceILi16ELi16EPKdS1_PdEv18rocblas_operation_iiT1_S4_T2_lllT3_llli
	.p2align	8
	.type	_ZL27rocblas_geam_inplace_deviceILi16ELi16EPKdS1_PdEv18rocblas_operation_iiT1_S4_T2_lllT3_llli,@function
_ZL27rocblas_geam_inplace_deviceILi16ELi16EPKdS1_PdEv18rocblas_operation_iiT1_S4_T2_lllT3_llli: ; @_ZL27rocblas_geam_inplace_deviceILi16ELi16EPKdS1_PdEv18rocblas_operation_iiT1_S4_T2_lllT3_llli
; %bb.0:
	s_load_b32 s27, s[0:1], 0x60
	s_bfe_u32 s2, ttmp6, 0x40014
	s_lshr_b32 s3, ttmp7, 16
	s_add_co_i32 s2, s2, 1
	s_bfe_u32 s4, ttmp6, 0x40008
	s_mul_i32 s2, s3, s2
	s_getreg_b32 s20, hwreg(HW_REG_IB_STS2, 6, 4)
	s_add_co_i32 s4, s4, s2
	s_cmp_eq_u32 s20, 0
	s_cselect_b32 s2, s3, s4
	s_mov_b32 s3, 0
	s_wait_kmcnt 0x0
	s_cmp_ge_u32 s2, s27
	s_cbranch_scc1 .LBB11_14
; %bb.1:
	s_load_b96 s[24:26], s[0:1], 0x0
	s_bfe_u32 s28, ttmp6, 0x4000c
	s_and_b32 s29, ttmp6, 15
	s_add_co_i32 s28, s28, 1
	v_mov_b32_e32 v10, 0
	s_mul_i32 s28, ttmp9, s28
	s_delay_alu instid0(SALU_CYCLE_1) | instskip(SKIP_2) | instid1(SALU_CYCLE_1)
	s_add_co_i32 s30, s29, s28
	s_wait_kmcnt 0x0
	s_add_co_i32 s4, s25, -1
	s_ashr_i32 s5, s4, 31
	s_delay_alu instid0(SALU_CYCLE_1) | instskip(NEXT) | instid1(SALU_CYCLE_1)
	s_lshr_b32 s5, s5, 28
	s_add_co_i32 s4, s4, s5
	s_delay_alu instid0(SALU_CYCLE_1) | instskip(NEXT) | instid1(SALU_CYCLE_1)
	s_ashr_i32 s21, s4, 4
	s_add_co_i32 s22, s21, 1
	s_not_b32 s21, s21
	s_cvt_f32_u32 s4, s22
	s_delay_alu instid0(SALU_CYCLE_3) | instskip(SKIP_2) | instid1(TRANS32_DEP_1)
	v_rcp_iflag_f32_e32 v1, s4
	s_load_b512 s[4:19], s[0:1], 0x10
	v_nop
	v_readfirstlane_b32 s23, v1
	v_bfe_u32 v1, v0, 10, 10
	v_and_b32_e32 v0, 0x3ff, v0
	s_mul_f32 s23, s23, 0x4f7ffffe
	s_delay_alu instid0(SALU_CYCLE_3) | instskip(NEXT) | instid1(SALU_CYCLE_3)
	s_cvt_u32_f32 s23, s23
	s_mul_i32 s21, s21, s23
	s_wait_kmcnt 0x0
	s_lshl_b64 s[18:19], s[18:19], 3
	s_mul_hi_u32 s21, s23, s21
	s_lshl_b64 s[28:29], s[10:11], 3
	s_add_co_i32 s23, s23, s21
	s_cmp_eq_u32 s20, 0
	s_cselect_b32 s10, ttmp9, s30
	s_delay_alu instid0(SALU_CYCLE_1) | instskip(NEXT) | instid1(SALU_CYCLE_1)
	s_mul_hi_u32 s11, s10, s23
	s_mul_i32 s20, s11, s22
	s_add_co_i32 s21, s11, 1
	s_sub_co_i32 s20, s10, s20
	s_delay_alu instid0(SALU_CYCLE_1)
	s_sub_co_i32 s23, s20, s22
	s_cmp_ge_u32 s20, s22
	s_cselect_b32 s11, s21, s11
	s_cselect_b32 s20, s23, s20
	s_add_co_i32 s21, s11, 1
	s_cmp_ge_u32 s20, s22
	s_cselect_b32 s11, s21, s11
	s_delay_alu instid0(SALU_CYCLE_1)
	s_mul_i32 s30, s11, s22
	s_load_b128 s[20:23], s[0:1], 0x50
	s_wait_xcnt 0x0
	s_sub_co_i32 s0, s10, s30
	v_lshl_add_u32 v2, s11, 4, v1
	v_lshl_add_u32 v4, s0, 4, v0
	s_delay_alu instid0(VALU_DEP_1) | instskip(SKIP_2) | instid1(VALU_DEP_3)
	v_dual_ashrrev_i32 v3, 31, v2 :: v_dual_ashrrev_i32 v5, 31, v4
	v_cmp_gt_i32_e32 vcc_lo, s26, v2
	v_cmp_gt_i32_e64 s0, s25, v4
	v_mad_nc_u64_u32 v[6:7], s12, v4, v[2:3]
	s_delay_alu instid0(VALU_DEP_4)
	v_mad_nc_u64_u32 v[8:9], s12, v2, v[4:5]
	s_and_b32 s10, s0, vcc_lo
	s_cmp_eq_u32 s24, 0x6f
	s_add_nc_u64 s[0:1], s[8:9], s[28:29]
	s_cselect_b32 vcc_lo, -1, 0
	s_wait_kmcnt 0x0
	v_mad_nc_u64_u32 v[0:1], s20, v2, v[4:5]
	s_delay_alu instid0(VALU_DEP_3) | instskip(NEXT) | instid1(VALU_DEP_3)
	v_mad_u32 v7, s13, v4, v7
	v_mad_u32 v9, s13, v2, v9
	s_delay_alu instid0(VALU_DEP_3) | instskip(SKIP_1) | instid1(VALU_DEP_4)
	v_mad_u32 v1, s21, v2, v1
	v_cndmask_b32_e32 v2, v6, v8, vcc_lo
	v_mad_u32 v5, s12, v5, v7
	s_delay_alu instid0(VALU_DEP_4) | instskip(NEXT) | instid1(VALU_DEP_4)
	v_mad_u32 v7, s12, v3, v9
	v_mad_u32 v1, s20, v3, v1
	s_delay_alu instid0(VALU_DEP_2) | instskip(NEXT) | instid1(VALU_DEP_1)
	v_cndmask_b32_e32 v3, v5, v7, vcc_lo
	v_lshl_add_u64 v[2:3], v[2:3], 3, s[0:1]
	s_add_nc_u64 s[0:1], s[16:17], s[18:19]
	s_branch .LBB11_4
.LBB11_2:                               ;   in Loop: Header=BB11_4 Depth=1
	global_store_b64 v[6:7], v[8:9], off
.LBB11_3:                               ;   in Loop: Header=BB11_4 Depth=1
	s_wait_xcnt 0x0
	s_or_b32 exec_lo, exec_lo, s8
	s_add_co_i32 s2, s2, 0x10000
	s_delay_alu instid0(SALU_CYCLE_1)
	s_cmp_lt_u32 s2, s27
	s_cbranch_scc0 .LBB11_14
.LBB11_4:                               ; =>This Inner Loop Header: Depth=1
	s_and_saveexec_b32 s8, s10
	s_cbranch_execz .LBB11_3
; %bb.5:                                ;   in Loop: Header=BB11_4 Depth=1
	global_load_b64 v[8:9], v10, s[6:7]
	s_wait_loadcnt 0x1
	global_load_b64 v[4:5], v10, s[4:5]
	s_mul_u64 s[12:13], s[22:23], s[2:3]
	s_delay_alu instid0(SALU_CYCLE_1) | instskip(NEXT) | instid1(SALU_CYCLE_1)
	s_lshl_b64 s[12:13], s[12:13], 3
	s_add_nc_u64 s[12:13], s[0:1], s[12:13]
	s_delay_alu instid0(SALU_CYCLE_1)
	v_lshl_add_u64 v[6:7], v[0:1], 3, s[12:13]
	s_wait_loadcnt 0x1
	v_cmp_neq_f64_e32 vcc_lo, 0, v[8:9]
	s_cbranch_vccz .LBB11_10
; %bb.6:                                ;   in Loop: Header=BB11_4 Depth=1
	s_mul_u64 s[12:13], s[14:15], s[2:3]
	s_wait_loadcnt 0x0
	v_cmp_neq_f64_e32 vcc_lo, 0, v[4:5]
	v_lshl_add_u64 v[12:13], s[12:13], 3, v[2:3]
	global_load_b64 v[12:13], v[12:13], off
	s_wait_loadcnt 0x0
	v_mul_f64_e32 v[8:9], v[8:9], v[12:13]
	s_cbranch_vccz .LBB11_13
; %bb.7:                                ;   in Loop: Header=BB11_4 Depth=1
	global_load_b64 v[12:13], v[6:7], off
	s_wait_loadcnt 0x0
	v_fma_f64 v[12:13], v[4:5], v[12:13], v[8:9]
	global_store_b64 v[6:7], v[12:13], off
	s_cbranch_execnz .LBB11_9
.LBB11_8:                               ;   in Loop: Header=BB11_4 Depth=1
	global_store_b64 v[6:7], v[8:9], off
.LBB11_9:                               ;   in Loop: Header=BB11_4 Depth=1
	s_cbranch_execnz .LBB11_3
	s_branch .LBB11_11
.LBB11_10:                              ;   in Loop: Header=BB11_4 Depth=1
.LBB11_11:                              ;   in Loop: Header=BB11_4 Depth=1
	s_wait_loadcnt 0x0
	v_cmp_eq_f64_e32 vcc_lo, 0, v[4:5]
	s_wait_xcnt 0x0
	v_mov_b64_e32 v[8:9], 0
	s_cbranch_vccnz .LBB11_2
; %bb.12:                               ;   in Loop: Header=BB11_4 Depth=1
	global_load_b64 v[8:9], v[6:7], off
	s_wait_loadcnt 0x0
	v_mul_f64_e32 v[8:9], v[4:5], v[8:9]
	s_branch .LBB11_2
.LBB11_13:                              ;   in Loop: Header=BB11_4 Depth=1
	s_branch .LBB11_8
.LBB11_14:
	s_endpgm
	.section	.rodata,"a",@progbits
	.p2align	6, 0x0
	.amdhsa_kernel _ZL27rocblas_geam_inplace_deviceILi16ELi16EPKdS1_PdEv18rocblas_operation_iiT1_S4_T2_lllT3_llli
		.amdhsa_group_segment_fixed_size 0
		.amdhsa_private_segment_fixed_size 0
		.amdhsa_kernarg_size 100
		.amdhsa_user_sgpr_count 2
		.amdhsa_user_sgpr_dispatch_ptr 0
		.amdhsa_user_sgpr_queue_ptr 0
		.amdhsa_user_sgpr_kernarg_segment_ptr 1
		.amdhsa_user_sgpr_dispatch_id 0
		.amdhsa_user_sgpr_kernarg_preload_length 0
		.amdhsa_user_sgpr_kernarg_preload_offset 0
		.amdhsa_user_sgpr_private_segment_size 0
		.amdhsa_wavefront_size32 1
		.amdhsa_uses_dynamic_stack 0
		.amdhsa_enable_private_segment 0
		.amdhsa_system_sgpr_workgroup_id_x 1
		.amdhsa_system_sgpr_workgroup_id_y 0
		.amdhsa_system_sgpr_workgroup_id_z 1
		.amdhsa_system_sgpr_workgroup_info 0
		.amdhsa_system_vgpr_workitem_id 1
		.amdhsa_next_free_vgpr 14
		.amdhsa_next_free_sgpr 31
		.amdhsa_named_barrier_count 0
		.amdhsa_reserve_vcc 1
		.amdhsa_float_round_mode_32 0
		.amdhsa_float_round_mode_16_64 0
		.amdhsa_float_denorm_mode_32 3
		.amdhsa_float_denorm_mode_16_64 3
		.amdhsa_fp16_overflow 0
		.amdhsa_memory_ordered 1
		.amdhsa_forward_progress 1
		.amdhsa_inst_pref_size 7
		.amdhsa_round_robin_scheduling 0
		.amdhsa_exception_fp_ieee_invalid_op 0
		.amdhsa_exception_fp_denorm_src 0
		.amdhsa_exception_fp_ieee_div_zero 0
		.amdhsa_exception_fp_ieee_overflow 0
		.amdhsa_exception_fp_ieee_underflow 0
		.amdhsa_exception_fp_ieee_inexact 0
		.amdhsa_exception_int_div_zero 0
	.end_amdhsa_kernel
	.section	.text._ZL27rocblas_geam_inplace_deviceILi16ELi16EPKdS1_PdEv18rocblas_operation_iiT1_S4_T2_lllT3_llli,"axG",@progbits,_ZL27rocblas_geam_inplace_deviceILi16ELi16EPKdS1_PdEv18rocblas_operation_iiT1_S4_T2_lllT3_llli,comdat
.Lfunc_end11:
	.size	_ZL27rocblas_geam_inplace_deviceILi16ELi16EPKdS1_PdEv18rocblas_operation_iiT1_S4_T2_lllT3_llli, .Lfunc_end11-_ZL27rocblas_geam_inplace_deviceILi16ELi16EPKdS1_PdEv18rocblas_operation_iiT1_S4_T2_lllT3_llli
                                        ; -- End function
	.set _ZL27rocblas_geam_inplace_deviceILi16ELi16EPKdS1_PdEv18rocblas_operation_iiT1_S4_T2_lllT3_llli.num_vgpr, 14
	.set _ZL27rocblas_geam_inplace_deviceILi16ELi16EPKdS1_PdEv18rocblas_operation_iiT1_S4_T2_lllT3_llli.num_agpr, 0
	.set _ZL27rocblas_geam_inplace_deviceILi16ELi16EPKdS1_PdEv18rocblas_operation_iiT1_S4_T2_lllT3_llli.numbered_sgpr, 31
	.set _ZL27rocblas_geam_inplace_deviceILi16ELi16EPKdS1_PdEv18rocblas_operation_iiT1_S4_T2_lllT3_llli.num_named_barrier, 0
	.set _ZL27rocblas_geam_inplace_deviceILi16ELi16EPKdS1_PdEv18rocblas_operation_iiT1_S4_T2_lllT3_llli.private_seg_size, 0
	.set _ZL27rocblas_geam_inplace_deviceILi16ELi16EPKdS1_PdEv18rocblas_operation_iiT1_S4_T2_lllT3_llli.uses_vcc, 1
	.set _ZL27rocblas_geam_inplace_deviceILi16ELi16EPKdS1_PdEv18rocblas_operation_iiT1_S4_T2_lllT3_llli.uses_flat_scratch, 0
	.set _ZL27rocblas_geam_inplace_deviceILi16ELi16EPKdS1_PdEv18rocblas_operation_iiT1_S4_T2_lllT3_llli.has_dyn_sized_stack, 0
	.set _ZL27rocblas_geam_inplace_deviceILi16ELi16EPKdS1_PdEv18rocblas_operation_iiT1_S4_T2_lllT3_llli.has_recursion, 0
	.set _ZL27rocblas_geam_inplace_deviceILi16ELi16EPKdS1_PdEv18rocblas_operation_iiT1_S4_T2_lllT3_llli.has_indirect_call, 0
	.section	.AMDGPU.csdata,"",@progbits
; Kernel info:
; codeLenInByte = 772
; TotalNumSgprs: 33
; NumVgprs: 14
; ScratchSize: 0
; MemoryBound: 0
; FloatMode: 240
; IeeeMode: 1
; LDSByteSize: 0 bytes/workgroup (compile time only)
; SGPRBlocks: 0
; VGPRBlocks: 0
; NumSGPRsForWavesPerEU: 33
; NumVGPRsForWavesPerEU: 14
; NamedBarCnt: 0
; Occupancy: 16
; WaveLimiterHint : 0
; COMPUTE_PGM_RSRC2:SCRATCH_EN: 0
; COMPUTE_PGM_RSRC2:USER_SGPR: 2
; COMPUTE_PGM_RSRC2:TRAP_HANDLER: 0
; COMPUTE_PGM_RSRC2:TGID_X_EN: 1
; COMPUTE_PGM_RSRC2:TGID_Y_EN: 0
; COMPUTE_PGM_RSRC2:TGID_Z_EN: 1
; COMPUTE_PGM_RSRC2:TIDIG_COMP_CNT: 1
	.section	.text._ZL30rocblas_geam_1D_2matrix_deviceILi256EdPKdPdEvmT0_T1_llT2_lli,"axG",@progbits,_ZL30rocblas_geam_1D_2matrix_deviceILi256EdPKdPdEvmT0_T1_llT2_lli,comdat
	.globl	_ZL30rocblas_geam_1D_2matrix_deviceILi256EdPKdPdEvmT0_T1_llT2_lli ; -- Begin function _ZL30rocblas_geam_1D_2matrix_deviceILi256EdPKdPdEvmT0_T1_llT2_lli
	.p2align	8
	.type	_ZL30rocblas_geam_1D_2matrix_deviceILi256EdPKdPdEvmT0_T1_llT2_lli,@function
_ZL30rocblas_geam_1D_2matrix_deviceILi256EdPKdPdEvmT0_T1_llT2_lli: ; @_ZL30rocblas_geam_1D_2matrix_deviceILi256EdPKdPdEvmT0_T1_llT2_lli
; %bb.0:
	s_load_b32 s20, s[0:1], 0x40
	s_bfe_u32 s2, ttmp6, 0x40014
	s_lshr_b32 s3, ttmp7, 16
	s_add_co_i32 s2, s2, 1
	s_bfe_u32 s4, ttmp6, 0x40008
	s_mul_i32 s2, s3, s2
	s_getreg_b32 s21, hwreg(HW_REG_IB_STS2, 6, 4)
	s_add_co_i32 s4, s4, s2
	s_cmp_eq_u32 s21, 0
	s_cselect_b32 s2, s3, s4
	s_mov_b32 s3, 0
	s_wait_kmcnt 0x0
	s_cmp_ge_u32 s2, s20
	s_cbranch_scc1 .LBB12_8
; %bb.1:
	s_clause 0x1
	s_load_b32 s22, s[0:1], 0x54
	s_load_b512 s[4:19], s[0:1], 0x0
	s_bfe_u32 s23, ttmp6, 0x4000c
	s_wait_xcnt 0x0
	s_and_b32 s0, ttmp6, 15
	s_add_co_i32 s23, s23, 1
	v_mov_b32_e32 v1, 0
	s_mul_i32 s1, ttmp9, s23
	s_delay_alu instid0(SALU_CYCLE_1)
	s_add_co_i32 s0, s0, s1
	s_wait_kmcnt 0x0
	s_and_b32 s1, s22, 0xffff
	s_cmp_eq_u32 s21, 0
	s_cselect_b32 s0, ttmp9, s0
	s_lshl_b64 s[10:11], s[10:11], 3
	v_mad_nc_u64_u32 v[0:1], s1, s0, v[0:1]
	s_lshl_b64 s[0:1], s[16:17], 3
	s_add_nc_u64 s[8:9], s[8:9], s[10:11]
	s_add_nc_u64 s[14:15], s[14:15], s[0:1]
	v_cmp_neq_f64_e64 s1, s[6:7], 0
	s_delay_alu instid0(VALU_DEP_2) | instskip(SKIP_1) | instid1(VALU_DEP_2)
	v_lshlrev_b64_e32 v[2:3], 3, v[0:1]
	v_cmp_gt_u64_e64 s0, s[4:5], v[0:1]
	v_add_nc_u64_e32 v[0:1], s[8:9], v[2:3]
	v_add_nc_u64_e32 v[2:3], s[14:15], v[2:3]
	s_branch .LBB12_5
.LBB12_2:                               ;   in Loop: Header=BB12_5 Depth=1
	s_mul_u64 s[8:9], s[12:13], s[2:3]
	s_delay_alu instid0(SALU_CYCLE_1)
	v_lshl_add_u64 v[4:5], s[8:9], 3, v[0:1]
	global_load_b64 v[4:5], v[4:5], off
	s_wait_loadcnt 0x0
	s_wait_xcnt 0x0
	v_mul_f64_e32 v[4:5], s[6:7], v[4:5]
.LBB12_3:                               ;   in Loop: Header=BB12_5 Depth=1
	s_mul_u64 s[8:9], s[18:19], s[2:3]
	s_delay_alu instid0(SALU_CYCLE_1)
	v_lshl_add_u64 v[6:7], s[8:9], 3, v[2:3]
	global_store_b64 v[6:7], v[4:5], off
.LBB12_4:                               ;   in Loop: Header=BB12_5 Depth=1
	s_wait_xcnt 0x0
	s_or_b32 exec_lo, exec_lo, s4
	s_add_co_i32 s2, s2, 0x10000
	s_delay_alu instid0(SALU_CYCLE_1)
	s_cmp_lt_u32 s2, s20
	s_cbranch_scc0 .LBB12_8
.LBB12_5:                               ; =>This Inner Loop Header: Depth=1
	s_delay_alu instid0(VALU_DEP_3)
	s_and_saveexec_b32 s4, s0
	s_cbranch_execz .LBB12_4
; %bb.6:                                ;   in Loop: Header=BB12_5 Depth=1
	s_and_not1_b32 vcc_lo, exec_lo, s1
	s_cbranch_vccz .LBB12_2
; %bb.7:                                ;   in Loop: Header=BB12_5 Depth=1
	v_mov_b64_e32 v[4:5], 0
	s_branch .LBB12_3
.LBB12_8:
	s_endpgm
	.section	.rodata,"a",@progbits
	.p2align	6, 0x0
	.amdhsa_kernel _ZL30rocblas_geam_1D_2matrix_deviceILi256EdPKdPdEvmT0_T1_llT2_lli
		.amdhsa_group_segment_fixed_size 0
		.amdhsa_private_segment_fixed_size 0
		.amdhsa_kernarg_size 328
		.amdhsa_user_sgpr_count 2
		.amdhsa_user_sgpr_dispatch_ptr 0
		.amdhsa_user_sgpr_queue_ptr 0
		.amdhsa_user_sgpr_kernarg_segment_ptr 1
		.amdhsa_user_sgpr_dispatch_id 0
		.amdhsa_user_sgpr_kernarg_preload_length 0
		.amdhsa_user_sgpr_kernarg_preload_offset 0
		.amdhsa_user_sgpr_private_segment_size 0
		.amdhsa_wavefront_size32 1
		.amdhsa_uses_dynamic_stack 0
		.amdhsa_enable_private_segment 0
		.amdhsa_system_sgpr_workgroup_id_x 1
		.amdhsa_system_sgpr_workgroup_id_y 0
		.amdhsa_system_sgpr_workgroup_id_z 1
		.amdhsa_system_sgpr_workgroup_info 0
		.amdhsa_system_vgpr_workitem_id 0
		.amdhsa_next_free_vgpr 8
		.amdhsa_next_free_sgpr 24
		.amdhsa_named_barrier_count 0
		.amdhsa_reserve_vcc 1
		.amdhsa_float_round_mode_32 0
		.amdhsa_float_round_mode_16_64 0
		.amdhsa_float_denorm_mode_32 3
		.amdhsa_float_denorm_mode_16_64 3
		.amdhsa_fp16_overflow 0
		.amdhsa_memory_ordered 1
		.amdhsa_forward_progress 1
		.amdhsa_inst_pref_size 3
		.amdhsa_round_robin_scheduling 0
		.amdhsa_exception_fp_ieee_invalid_op 0
		.amdhsa_exception_fp_denorm_src 0
		.amdhsa_exception_fp_ieee_div_zero 0
		.amdhsa_exception_fp_ieee_overflow 0
		.amdhsa_exception_fp_ieee_underflow 0
		.amdhsa_exception_fp_ieee_inexact 0
		.amdhsa_exception_int_div_zero 0
	.end_amdhsa_kernel
	.section	.text._ZL30rocblas_geam_1D_2matrix_deviceILi256EdPKdPdEvmT0_T1_llT2_lli,"axG",@progbits,_ZL30rocblas_geam_1D_2matrix_deviceILi256EdPKdPdEvmT0_T1_llT2_lli,comdat
.Lfunc_end12:
	.size	_ZL30rocblas_geam_1D_2matrix_deviceILi256EdPKdPdEvmT0_T1_llT2_lli, .Lfunc_end12-_ZL30rocblas_geam_1D_2matrix_deviceILi256EdPKdPdEvmT0_T1_llT2_lli
                                        ; -- End function
	.set _ZL30rocblas_geam_1D_2matrix_deviceILi256EdPKdPdEvmT0_T1_llT2_lli.num_vgpr, 8
	.set _ZL30rocblas_geam_1D_2matrix_deviceILi256EdPKdPdEvmT0_T1_llT2_lli.num_agpr, 0
	.set _ZL30rocblas_geam_1D_2matrix_deviceILi256EdPKdPdEvmT0_T1_llT2_lli.numbered_sgpr, 24
	.set _ZL30rocblas_geam_1D_2matrix_deviceILi256EdPKdPdEvmT0_T1_llT2_lli.num_named_barrier, 0
	.set _ZL30rocblas_geam_1D_2matrix_deviceILi256EdPKdPdEvmT0_T1_llT2_lli.private_seg_size, 0
	.set _ZL30rocblas_geam_1D_2matrix_deviceILi256EdPKdPdEvmT0_T1_llT2_lli.uses_vcc, 1
	.set _ZL30rocblas_geam_1D_2matrix_deviceILi256EdPKdPdEvmT0_T1_llT2_lli.uses_flat_scratch, 0
	.set _ZL30rocblas_geam_1D_2matrix_deviceILi256EdPKdPdEvmT0_T1_llT2_lli.has_dyn_sized_stack, 0
	.set _ZL30rocblas_geam_1D_2matrix_deviceILi256EdPKdPdEvmT0_T1_llT2_lli.has_recursion, 0
	.set _ZL30rocblas_geam_1D_2matrix_deviceILi256EdPKdPdEvmT0_T1_llT2_lli.has_indirect_call, 0
	.section	.AMDGPU.csdata,"",@progbits
; Kernel info:
; codeLenInByte = 332
; TotalNumSgprs: 26
; NumVgprs: 8
; ScratchSize: 0
; MemoryBound: 0
; FloatMode: 240
; IeeeMode: 1
; LDSByteSize: 0 bytes/workgroup (compile time only)
; SGPRBlocks: 0
; VGPRBlocks: 0
; NumSGPRsForWavesPerEU: 26
; NumVGPRsForWavesPerEU: 8
; NamedBarCnt: 0
; Occupancy: 16
; WaveLimiterHint : 0
; COMPUTE_PGM_RSRC2:SCRATCH_EN: 0
; COMPUTE_PGM_RSRC2:USER_SGPR: 2
; COMPUTE_PGM_RSRC2:TRAP_HANDLER: 0
; COMPUTE_PGM_RSRC2:TGID_X_EN: 1
; COMPUTE_PGM_RSRC2:TGID_Y_EN: 0
; COMPUTE_PGM_RSRC2:TGID_Z_EN: 1
; COMPUTE_PGM_RSRC2:TIDIG_COMP_CNT: 0
	.section	.text._ZL27rocblas_geam_2matrix_deviceILi16ELi16EdPKdPdEv18rocblas_operation_iiT1_T2_lllT3_llli,"axG",@progbits,_ZL27rocblas_geam_2matrix_deviceILi16ELi16EdPKdPdEv18rocblas_operation_iiT1_T2_lllT3_llli,comdat
	.globl	_ZL27rocblas_geam_2matrix_deviceILi16ELi16EdPKdPdEv18rocblas_operation_iiT1_T2_lllT3_llli ; -- Begin function _ZL27rocblas_geam_2matrix_deviceILi16ELi16EdPKdPdEv18rocblas_operation_iiT1_T2_lllT3_llli
	.p2align	8
	.type	_ZL27rocblas_geam_2matrix_deviceILi16ELi16EdPKdPdEv18rocblas_operation_iiT1_T2_lllT3_llli,@function
_ZL27rocblas_geam_2matrix_deviceILi16ELi16EdPKdPdEv18rocblas_operation_iiT1_T2_lllT3_llli: ; @_ZL27rocblas_geam_2matrix_deviceILi16ELi16EdPKdPdEv18rocblas_operation_iiT1_T2_lllT3_llli
; %bb.0:
	s_load_b32 s3, s[0:1], 0x58
	s_bfe_u32 s2, ttmp6, 0x40014
	s_lshr_b32 s4, ttmp7, 16
	s_add_co_i32 s2, s2, 1
	s_bfe_u32 s6, ttmp6, 0x40008
	s_mul_i32 s5, s4, s2
	s_getreg_b32 s2, hwreg(HW_REG_IB_STS2, 6, 4)
	s_add_co_i32 s6, s6, s5
	s_cmp_eq_u32 s2, 0
	s_mov_b32 s25, 0
	s_cselect_b32 s24, s4, s6
	s_wait_kmcnt 0x0
	s_cmp_ge_u32 s24, s3
	s_cbranch_scc1 .LBB13_8
; %bb.1:
	s_load_b96 s[20:22], s[0:1], 0x0
	s_bfe_u32 s28, ttmp6, 0x4000c
	s_and_b32 s29, ttmp6, 15
	s_add_co_i32 s28, s28, 1
	v_and_b32_e32 v2, 0x3ff, v0
	s_mul_i32 s28, ttmp9, s28
	s_delay_alu instid0(SALU_CYCLE_1) | instskip(SKIP_2) | instid1(SALU_CYCLE_1)
	s_add_co_i32 s29, s29, s28
	s_wait_kmcnt 0x0
	s_add_co_i32 s4, s21, -1
	s_ashr_i32 s5, s4, 31
	s_delay_alu instid0(SALU_CYCLE_1) | instskip(NEXT) | instid1(SALU_CYCLE_1)
	s_lshr_b32 s5, s5, 28
	s_add_co_i32 s4, s4, s5
	s_delay_alu instid0(SALU_CYCLE_1) | instskip(NEXT) | instid1(SALU_CYCLE_1)
	s_ashr_i32 s23, s4, 4
	s_add_co_i32 s26, s23, 1
	s_not_b32 s23, s23
	s_cvt_f32_u32 s4, s26
	s_delay_alu instid0(SALU_CYCLE_3) | instskip(SKIP_2) | instid1(TRANS32_DEP_1)
	v_rcp_iflag_f32_e32 v1, s4
	s_load_b512 s[4:19], s[0:1], 0x10
	v_nop
	v_readfirstlane_b32 s27, v1
	v_bfe_u32 v1, v0, 10, 10
	s_wait_xcnt 0x0
	s_load_b64 s[0:1], s[0:1], 0x50
	s_mul_f32 s27, s27, 0x4f7ffffe
	s_delay_alu instid0(SALU_CYCLE_3) | instskip(NEXT) | instid1(SALU_CYCLE_3)
	s_cvt_u32_f32 s27, s27
	s_mul_i32 s23, s23, s27
	s_wait_kmcnt 0x0
	s_lshl_b64 s[16:17], s[16:17], 3
	s_mul_hi_u32 s23, s27, s23
	s_lshl_b64 s[8:9], s[8:9], 3
	s_add_co_i32 s27, s27, s23
	s_cmp_eq_u32 s2, 0
	s_add_nc_u64 s[6:7], s[6:7], s[8:9]
	s_cselect_b32 s2, ttmp9, s29
	s_delay_alu instid0(SALU_CYCLE_1) | instskip(NEXT) | instid1(SALU_CYCLE_1)
	s_mul_hi_u32 s23, s2, s27
	s_mul_i32 s27, s23, s26
	s_add_co_i32 s28, s23, 1
	s_sub_co_i32 s27, s2, s27
	s_delay_alu instid0(SALU_CYCLE_1)
	s_sub_co_i32 s29, s27, s26
	s_cmp_ge_u32 s27, s26
	s_cselect_b32 s23, s28, s23
	s_cselect_b32 s27, s29, s27
	s_add_co_i32 s28, s23, 1
	s_cmp_ge_u32 s27, s26
	s_cselect_b32 s23, s28, s23
	s_delay_alu instid0(SALU_CYCLE_1) | instskip(SKIP_2) | instid1(SALU_CYCLE_1)
	s_mul_i32 s26, s23, s26
	v_lshl_add_u32 v0, s23, 4, v1
	s_sub_co_i32 s2, s2, s26
	v_lshl_add_u32 v2, s2, 4, v2
	s_delay_alu instid0(VALU_DEP_2) | instskip(SKIP_1) | instid1(VALU_DEP_3)
	v_ashrrev_i32_e32 v1, 31, v0
	v_cmp_gt_i32_e32 vcc_lo, s22, v0
	v_ashrrev_i32_e32 v3, 31, v2
	v_cmp_gt_i32_e64 s2, s21, v2
	s_delay_alu instid0(VALU_DEP_4) | instskip(SKIP_1) | instid1(VALU_DEP_4)
	v_mad_nc_u64_u32 v[6:7], s10, v2, v[0:1]
	v_mul_u64_e32 v[4:5], s[18:19], v[0:1]
	v_mad_nc_u64_u32 v[8:9], s10, v0, v[2:3]
	s_and_b32 s2, s2, vcc_lo
	s_cmp_eq_u32 s20, 0x6f
	s_cselect_b32 vcc_lo, -1, 0
	s_delay_alu instid0(VALU_DEP_3) | instskip(NEXT) | instid1(VALU_DEP_2)
	v_mad_u32 v7, s11, v2, v7
	v_mad_u32 v9, s11, v0, v9
	s_delay_alu instid0(VALU_DEP_2) | instskip(NEXT) | instid1(VALU_DEP_2)
	v_mad_u32 v7, s10, v3, v7
	v_mad_u32 v9, s10, v1, v9
	s_add_nc_u64 s[10:11], s[14:15], s[16:17]
	s_delay_alu instid0(SALU_CYCLE_1) | instskip(NEXT) | instid1(VALU_DEP_2)
	v_lshl_add_u64 v[0:1], v[4:5], 3, s[10:11]
	v_dual_cndmask_b32 v4, v6, v8 :: v_dual_cndmask_b32 v5, v7, v9
	s_delay_alu instid0(VALU_DEP_2) | instskip(NEXT) | instid1(VALU_DEP_2)
	v_lshl_add_u64 v[0:1], v[2:3], 3, v[0:1]
	v_lshl_add_u64 v[2:3], v[4:5], 3, s[6:7]
	v_cmp_neq_f64_e64 s6, s[4:5], 0
	s_branch .LBB13_5
.LBB13_2:                               ;   in Loop: Header=BB13_5 Depth=1
	s_mul_u64 s[8:9], s[12:13], s[24:25]
	s_delay_alu instid0(SALU_CYCLE_1)
	v_lshl_add_u64 v[4:5], s[8:9], 3, v[2:3]
	global_load_b64 v[4:5], v[4:5], off
	s_wait_loadcnt 0x0
	s_wait_xcnt 0x0
	v_mul_f64_e32 v[4:5], s[4:5], v[4:5]
.LBB13_3:                               ;   in Loop: Header=BB13_5 Depth=1
	s_mul_u64 s[8:9], s[0:1], s[24:25]
	s_delay_alu instid0(SALU_CYCLE_1)
	v_lshl_add_u64 v[6:7], s[8:9], 3, v[0:1]
	global_store_b64 v[6:7], v[4:5], off
.LBB13_4:                               ;   in Loop: Header=BB13_5 Depth=1
	s_wait_xcnt 0x0
	s_or_b32 exec_lo, exec_lo, s7
	s_add_co_i32 s24, s24, 0x10000
	s_delay_alu instid0(SALU_CYCLE_1)
	s_cmp_lt_u32 s24, s3
	s_cbranch_scc0 .LBB13_8
.LBB13_5:                               ; =>This Inner Loop Header: Depth=1
	s_and_saveexec_b32 s7, s2
	s_cbranch_execz .LBB13_4
; %bb.6:                                ;   in Loop: Header=BB13_5 Depth=1
	s_delay_alu instid0(VALU_DEP_1)
	s_and_not1_b32 vcc_lo, exec_lo, s6
	s_cbranch_vccz .LBB13_2
; %bb.7:                                ;   in Loop: Header=BB13_5 Depth=1
	v_mov_b64_e32 v[4:5], 0
	s_branch .LBB13_3
.LBB13_8:
	s_endpgm
	.section	.rodata,"a",@progbits
	.p2align	6, 0x0
	.amdhsa_kernel _ZL27rocblas_geam_2matrix_deviceILi16ELi16EdPKdPdEv18rocblas_operation_iiT1_T2_lllT3_llli
		.amdhsa_group_segment_fixed_size 0
		.amdhsa_private_segment_fixed_size 0
		.amdhsa_kernarg_size 92
		.amdhsa_user_sgpr_count 2
		.amdhsa_user_sgpr_dispatch_ptr 0
		.amdhsa_user_sgpr_queue_ptr 0
		.amdhsa_user_sgpr_kernarg_segment_ptr 1
		.amdhsa_user_sgpr_dispatch_id 0
		.amdhsa_user_sgpr_kernarg_preload_length 0
		.amdhsa_user_sgpr_kernarg_preload_offset 0
		.amdhsa_user_sgpr_private_segment_size 0
		.amdhsa_wavefront_size32 1
		.amdhsa_uses_dynamic_stack 0
		.amdhsa_enable_private_segment 0
		.amdhsa_system_sgpr_workgroup_id_x 1
		.amdhsa_system_sgpr_workgroup_id_y 0
		.amdhsa_system_sgpr_workgroup_id_z 1
		.amdhsa_system_sgpr_workgroup_info 0
		.amdhsa_system_vgpr_workitem_id 1
		.amdhsa_next_free_vgpr 10
		.amdhsa_next_free_sgpr 30
		.amdhsa_named_barrier_count 0
		.amdhsa_reserve_vcc 1
		.amdhsa_float_round_mode_32 0
		.amdhsa_float_round_mode_16_64 0
		.amdhsa_float_denorm_mode_32 3
		.amdhsa_float_denorm_mode_16_64 3
		.amdhsa_fp16_overflow 0
		.amdhsa_memory_ordered 1
		.amdhsa_forward_progress 1
		.amdhsa_inst_pref_size 5
		.amdhsa_round_robin_scheduling 0
		.amdhsa_exception_fp_ieee_invalid_op 0
		.amdhsa_exception_fp_denorm_src 0
		.amdhsa_exception_fp_ieee_div_zero 0
		.amdhsa_exception_fp_ieee_overflow 0
		.amdhsa_exception_fp_ieee_underflow 0
		.amdhsa_exception_fp_ieee_inexact 0
		.amdhsa_exception_int_div_zero 0
	.end_amdhsa_kernel
	.section	.text._ZL27rocblas_geam_2matrix_deviceILi16ELi16EdPKdPdEv18rocblas_operation_iiT1_T2_lllT3_llli,"axG",@progbits,_ZL27rocblas_geam_2matrix_deviceILi16ELi16EdPKdPdEv18rocblas_operation_iiT1_T2_lllT3_llli,comdat
.Lfunc_end13:
	.size	_ZL27rocblas_geam_2matrix_deviceILi16ELi16EdPKdPdEv18rocblas_operation_iiT1_T2_lllT3_llli, .Lfunc_end13-_ZL27rocblas_geam_2matrix_deviceILi16ELi16EdPKdPdEv18rocblas_operation_iiT1_T2_lllT3_llli
                                        ; -- End function
	.set _ZL27rocblas_geam_2matrix_deviceILi16ELi16EdPKdPdEv18rocblas_operation_iiT1_T2_lllT3_llli.num_vgpr, 10
	.set _ZL27rocblas_geam_2matrix_deviceILi16ELi16EdPKdPdEv18rocblas_operation_iiT1_T2_lllT3_llli.num_agpr, 0
	.set _ZL27rocblas_geam_2matrix_deviceILi16ELi16EdPKdPdEv18rocblas_operation_iiT1_T2_lllT3_llli.numbered_sgpr, 30
	.set _ZL27rocblas_geam_2matrix_deviceILi16ELi16EdPKdPdEv18rocblas_operation_iiT1_T2_lllT3_llli.num_named_barrier, 0
	.set _ZL27rocblas_geam_2matrix_deviceILi16ELi16EdPKdPdEv18rocblas_operation_iiT1_T2_lllT3_llli.private_seg_size, 0
	.set _ZL27rocblas_geam_2matrix_deviceILi16ELi16EdPKdPdEv18rocblas_operation_iiT1_T2_lllT3_llli.uses_vcc, 1
	.set _ZL27rocblas_geam_2matrix_deviceILi16ELi16EdPKdPdEv18rocblas_operation_iiT1_T2_lllT3_llli.uses_flat_scratch, 0
	.set _ZL27rocblas_geam_2matrix_deviceILi16ELi16EdPKdPdEv18rocblas_operation_iiT1_T2_lllT3_llli.has_dyn_sized_stack, 0
	.set _ZL27rocblas_geam_2matrix_deviceILi16ELi16EdPKdPdEv18rocblas_operation_iiT1_T2_lllT3_llli.has_recursion, 0
	.set _ZL27rocblas_geam_2matrix_deviceILi16ELi16EdPKdPdEv18rocblas_operation_iiT1_T2_lllT3_llli.has_indirect_call, 0
	.section	.AMDGPU.csdata,"",@progbits
; Kernel info:
; codeLenInByte = 620
; TotalNumSgprs: 32
; NumVgprs: 10
; ScratchSize: 0
; MemoryBound: 0
; FloatMode: 240
; IeeeMode: 1
; LDSByteSize: 0 bytes/workgroup (compile time only)
; SGPRBlocks: 0
; VGPRBlocks: 0
; NumSGPRsForWavesPerEU: 32
; NumVGPRsForWavesPerEU: 10
; NamedBarCnt: 0
; Occupancy: 16
; WaveLimiterHint : 0
; COMPUTE_PGM_RSRC2:SCRATCH_EN: 0
; COMPUTE_PGM_RSRC2:USER_SGPR: 2
; COMPUTE_PGM_RSRC2:TRAP_HANDLER: 0
; COMPUTE_PGM_RSRC2:TGID_X_EN: 1
; COMPUTE_PGM_RSRC2:TGID_Y_EN: 0
; COMPUTE_PGM_RSRC2:TGID_Z_EN: 1
; COMPUTE_PGM_RSRC2:TIDIG_COMP_CNT: 1
	.section	.text._ZL22rocblas_geam_1D_deviceILi256EdPKdPdEvmT0_T1_llS3_S4_llT2_lli,"axG",@progbits,_ZL22rocblas_geam_1D_deviceILi256EdPKdPdEvmT0_T1_llS3_S4_llT2_lli,comdat
	.globl	_ZL22rocblas_geam_1D_deviceILi256EdPKdPdEvmT0_T1_llS3_S4_llT2_lli ; -- Begin function _ZL22rocblas_geam_1D_deviceILi256EdPKdPdEvmT0_T1_llS3_S4_llT2_lli
	.p2align	8
	.type	_ZL22rocblas_geam_1D_deviceILi256EdPKdPdEvmT0_T1_llS3_S4_llT2_lli,@function
_ZL22rocblas_geam_1D_deviceILi256EdPKdPdEvmT0_T1_llS3_S4_llT2_lli: ; @_ZL22rocblas_geam_1D_deviceILi256EdPKdPdEvmT0_T1_llS3_S4_llT2_lli
; %bb.0:
	s_load_b32 s28, s[0:1], 0x60
	s_bfe_u32 s2, ttmp6, 0x40014
	s_lshr_b32 s3, ttmp7, 16
	s_add_co_i32 s2, s2, 1
	s_bfe_u32 s4, ttmp6, 0x40008
	s_mul_i32 s2, s3, s2
	s_getreg_b32 s29, hwreg(HW_REG_IB_STS2, 6, 4)
	s_add_co_i32 s4, s4, s2
	s_cmp_eq_u32 s29, 0
	s_cselect_b32 s2, s3, s4
	s_mov_b32 s3, 0
	s_wait_kmcnt 0x0
	s_cmp_ge_u32 s2, s28
	s_cbranch_scc1 .LBB14_11
; %bb.1:
	s_clause 0x2
	s_load_b512 s[4:19], s[0:1], 0x0
	s_load_b32 s30, s[0:1], 0x74
	s_load_b256 s[20:27], s[0:1], 0x40
	s_wait_xcnt 0x0
	s_bfe_u32 s0, ttmp6, 0x4000c
	s_and_b32 s1, ttmp6, 15
	s_add_co_i32 s0, s0, 1
	v_mov_b32_e32 v1, 0
	s_mul_i32 s0, ttmp9, s0
	s_delay_alu instid0(SALU_CYCLE_1)
	s_add_co_i32 s1, s1, s0
	s_wait_kmcnt 0x0
	v_cmp_neq_f64_e64 s31, s[14:15], 0
	v_cmp_neq_f64_e64 s33, s[6:7], 0
	s_and_b32 s0, s30, 0xffff
	s_cmp_eq_u32 s29, 0
	s_cselect_b32 s1, ttmp9, s1
	s_lshl_b64 s[10:11], s[10:11], 3
	v_mad_nc_u64_u32 v[0:1], s0, s1, v[0:1]
	s_lshl_b64 s[0:1], s[24:25], 3
	s_lshl_b64 s[18:19], s[18:19], 3
	s_add_nc_u64 s[22:23], s[22:23], s[0:1]
	s_add_nc_u64 s[8:9], s[8:9], s[10:11]
	;; [unrolled: 1-line block ×3, first 2 shown]
	s_delay_alu instid0(VALU_DEP_1) | instskip(SKIP_1) | instid1(VALU_DEP_2)
	v_lshlrev_b64_e32 v[4:5], 3, v[0:1]
	v_cmp_gt_u64_e64 s0, s[4:5], v[0:1]
	v_add_nc_u64_e32 v[0:1], s[10:11], v[4:5]
	v_add_nc_u64_e32 v[2:3], s[8:9], v[4:5]
	;; [unrolled: 1-line block ×3, first 2 shown]
	v_cndmask_b32_e64 v10, 0, 1, s31
	v_cndmask_b32_e64 v11, 0, 1, s33
	s_or_b32 s1, s33, s31
	s_branch .LBB14_5
.LBB14_2:                               ;   in Loop: Header=BB14_5 Depth=1
	s_delay_alu instid0(VALU_DEP_1)
	v_add_f64_e32 v[6:7], v[8:9], v[6:7]
.LBB14_3:                               ;   in Loop: Header=BB14_5 Depth=1
	s_mul_u64 s[8:9], s[26:27], s[2:3]
	s_delay_alu instid0(SALU_CYCLE_1)
	v_lshl_add_u64 v[8:9], s[8:9], 3, v[4:5]
	global_store_b64 v[8:9], v[6:7], off
.LBB14_4:                               ;   in Loop: Header=BB14_5 Depth=1
	s_wait_xcnt 0x0
	s_or_b32 exec_lo, exec_lo, s4
	s_add_co_i32 s2, s2, 0x10000
	s_delay_alu instid0(SALU_CYCLE_1)
	s_cmp_lt_u32 s2, s28
	s_cbranch_scc0 .LBB14_11
.LBB14_5:                               ; =>This Inner Loop Header: Depth=1
	s_and_saveexec_b32 s4, s0
	s_cbranch_execz .LBB14_4
; %bb.6:                                ;   in Loop: Header=BB14_5 Depth=1
	v_mov_b64_e32 v[6:7], 0
	s_and_not1_b32 vcc_lo, exec_lo, s1
	s_cbranch_vccnz .LBB14_3
; %bb.7:                                ;   in Loop: Header=BB14_5 Depth=1
	v_mov_b64_e32 v[6:7], 0
	v_cmp_ne_u32_e32 vcc_lo, 1, v10
	v_mov_b64_e32 v[8:9], 0
	s_cbranch_vccnz .LBB14_9
; %bb.8:                                ;   in Loop: Header=BB14_5 Depth=1
	s_mul_u64 s[8:9], s[20:21], s[2:3]
	s_delay_alu instid0(SALU_CYCLE_1)
	v_lshl_add_u64 v[8:9], s[8:9], 3, v[0:1]
	global_load_b64 v[8:9], v[8:9], off
	s_wait_loadcnt 0x0
	s_wait_xcnt 0x0
	v_mul_f64_e32 v[8:9], s[14:15], v[8:9]
.LBB14_9:                               ;   in Loop: Header=BB14_5 Depth=1
	v_cmp_ne_u32_e32 vcc_lo, 1, v11
	s_cbranch_vccnz .LBB14_2
; %bb.10:                               ;   in Loop: Header=BB14_5 Depth=1
	s_mul_u64 s[8:9], s[12:13], s[2:3]
	s_delay_alu instid0(SALU_CYCLE_1)
	v_lshl_add_u64 v[6:7], s[8:9], 3, v[2:3]
	global_load_b64 v[6:7], v[6:7], off
	s_wait_loadcnt 0x0
	s_wait_xcnt 0x0
	v_mul_f64_e32 v[6:7], s[6:7], v[6:7]
	s_branch .LBB14_2
.LBB14_11:
	s_endpgm
	.section	.rodata,"a",@progbits
	.p2align	6, 0x0
	.amdhsa_kernel _ZL22rocblas_geam_1D_deviceILi256EdPKdPdEvmT0_T1_llS3_S4_llT2_lli
		.amdhsa_group_segment_fixed_size 0
		.amdhsa_private_segment_fixed_size 0
		.amdhsa_kernarg_size 360
		.amdhsa_user_sgpr_count 2
		.amdhsa_user_sgpr_dispatch_ptr 0
		.amdhsa_user_sgpr_queue_ptr 0
		.amdhsa_user_sgpr_kernarg_segment_ptr 1
		.amdhsa_user_sgpr_dispatch_id 0
		.amdhsa_user_sgpr_kernarg_preload_length 0
		.amdhsa_user_sgpr_kernarg_preload_offset 0
		.amdhsa_user_sgpr_private_segment_size 0
		.amdhsa_wavefront_size32 1
		.amdhsa_uses_dynamic_stack 0
		.amdhsa_enable_private_segment 0
		.amdhsa_system_sgpr_workgroup_id_x 1
		.amdhsa_system_sgpr_workgroup_id_y 0
		.amdhsa_system_sgpr_workgroup_id_z 1
		.amdhsa_system_sgpr_workgroup_info 0
		.amdhsa_system_vgpr_workitem_id 0
		.amdhsa_next_free_vgpr 12
		.amdhsa_next_free_sgpr 34
		.amdhsa_named_barrier_count 0
		.amdhsa_reserve_vcc 1
		.amdhsa_float_round_mode_32 0
		.amdhsa_float_round_mode_16_64 0
		.amdhsa_float_denorm_mode_32 3
		.amdhsa_float_denorm_mode_16_64 3
		.amdhsa_fp16_overflow 0
		.amdhsa_memory_ordered 1
		.amdhsa_forward_progress 1
		.amdhsa_inst_pref_size 4
		.amdhsa_round_robin_scheduling 0
		.amdhsa_exception_fp_ieee_invalid_op 0
		.amdhsa_exception_fp_denorm_src 0
		.amdhsa_exception_fp_ieee_div_zero 0
		.amdhsa_exception_fp_ieee_overflow 0
		.amdhsa_exception_fp_ieee_underflow 0
		.amdhsa_exception_fp_ieee_inexact 0
		.amdhsa_exception_int_div_zero 0
	.end_amdhsa_kernel
	.section	.text._ZL22rocblas_geam_1D_deviceILi256EdPKdPdEvmT0_T1_llS3_S4_llT2_lli,"axG",@progbits,_ZL22rocblas_geam_1D_deviceILi256EdPKdPdEvmT0_T1_llS3_S4_llT2_lli,comdat
.Lfunc_end14:
	.size	_ZL22rocblas_geam_1D_deviceILi256EdPKdPdEvmT0_T1_llS3_S4_llT2_lli, .Lfunc_end14-_ZL22rocblas_geam_1D_deviceILi256EdPKdPdEvmT0_T1_llS3_S4_llT2_lli
                                        ; -- End function
	.set _ZL22rocblas_geam_1D_deviceILi256EdPKdPdEvmT0_T1_llS3_S4_llT2_lli.num_vgpr, 12
	.set _ZL22rocblas_geam_1D_deviceILi256EdPKdPdEvmT0_T1_llS3_S4_llT2_lli.num_agpr, 0
	.set _ZL22rocblas_geam_1D_deviceILi256EdPKdPdEvmT0_T1_llS3_S4_llT2_lli.numbered_sgpr, 34
	.set _ZL22rocblas_geam_1D_deviceILi256EdPKdPdEvmT0_T1_llS3_S4_llT2_lli.num_named_barrier, 0
	.set _ZL22rocblas_geam_1D_deviceILi256EdPKdPdEvmT0_T1_llS3_S4_llT2_lli.private_seg_size, 0
	.set _ZL22rocblas_geam_1D_deviceILi256EdPKdPdEvmT0_T1_llS3_S4_llT2_lli.uses_vcc, 1
	.set _ZL22rocblas_geam_1D_deviceILi256EdPKdPdEvmT0_T1_llS3_S4_llT2_lli.uses_flat_scratch, 0
	.set _ZL22rocblas_geam_1D_deviceILi256EdPKdPdEvmT0_T1_llS3_S4_llT2_lli.has_dyn_sized_stack, 0
	.set _ZL22rocblas_geam_1D_deviceILi256EdPKdPdEvmT0_T1_llS3_S4_llT2_lli.has_recursion, 0
	.set _ZL22rocblas_geam_1D_deviceILi256EdPKdPdEvmT0_T1_llS3_S4_llT2_lli.has_indirect_call, 0
	.section	.AMDGPU.csdata,"",@progbits
; Kernel info:
; codeLenInByte = 448
; TotalNumSgprs: 36
; NumVgprs: 12
; ScratchSize: 0
; MemoryBound: 0
; FloatMode: 240
; IeeeMode: 1
; LDSByteSize: 0 bytes/workgroup (compile time only)
; SGPRBlocks: 0
; VGPRBlocks: 0
; NumSGPRsForWavesPerEU: 36
; NumVGPRsForWavesPerEU: 12
; NamedBarCnt: 0
; Occupancy: 16
; WaveLimiterHint : 0
; COMPUTE_PGM_RSRC2:SCRATCH_EN: 0
; COMPUTE_PGM_RSRC2:USER_SGPR: 2
; COMPUTE_PGM_RSRC2:TRAP_HANDLER: 0
; COMPUTE_PGM_RSRC2:TGID_X_EN: 1
; COMPUTE_PGM_RSRC2:TGID_Y_EN: 0
; COMPUTE_PGM_RSRC2:TGID_Z_EN: 1
; COMPUTE_PGM_RSRC2:TIDIG_COMP_CNT: 0
	.section	.text._ZL22rocblas_geam_1D_deviceILi256EPKdS1_PdEvmT0_T1_llS3_S4_llT2_lli,"axG",@progbits,_ZL22rocblas_geam_1D_deviceILi256EPKdS1_PdEvmT0_T1_llS3_S4_llT2_lli,comdat
	.globl	_ZL22rocblas_geam_1D_deviceILi256EPKdS1_PdEvmT0_T1_llS3_S4_llT2_lli ; -- Begin function _ZL22rocblas_geam_1D_deviceILi256EPKdS1_PdEvmT0_T1_llS3_S4_llT2_lli
	.p2align	8
	.type	_ZL22rocblas_geam_1D_deviceILi256EPKdS1_PdEvmT0_T1_llS3_S4_llT2_lli,@function
_ZL22rocblas_geam_1D_deviceILi256EPKdS1_PdEvmT0_T1_llS3_S4_llT2_lli: ; @_ZL22rocblas_geam_1D_deviceILi256EPKdS1_PdEvmT0_T1_llS3_S4_llT2_lli
; %bb.0:
	s_load_b32 s28, s[0:1], 0x60
	s_bfe_u32 s2, ttmp6, 0x40014
	s_lshr_b32 s3, ttmp7, 16
	s_add_co_i32 s2, s2, 1
	s_bfe_u32 s4, ttmp6, 0x40008
	s_mul_i32 s2, s3, s2
	s_getreg_b32 s29, hwreg(HW_REG_IB_STS2, 6, 4)
	s_add_co_i32 s4, s4, s2
	s_cmp_eq_u32 s29, 0
	s_cselect_b32 s2, s3, s4
	s_mov_b32 s3, 0
	s_wait_kmcnt 0x0
	s_cmp_ge_u32 s2, s28
	s_cbranch_scc1 .LBB15_11
; %bb.1:
	s_clause 0x1
	s_load_b32 s30, s[0:1], 0x74
	s_load_b512 s[4:19], s[0:1], 0x0
	s_bfe_u32 s31, ttmp6, 0x4000c
	s_load_b256 s[20:27], s[0:1], 0x40
	s_add_co_i32 s31, s31, 1
	s_wait_xcnt 0x0
	s_and_b32 s0, ttmp6, 15
	s_mul_i32 s1, ttmp9, s31
	v_mov_b32_e32 v1, 0
	s_add_co_i32 s0, s0, s1
	s_wait_kmcnt 0x0
	s_and_b32 s1, s30, 0xffff
	s_cmp_eq_u32 s29, 0
	s_cselect_b32 s0, ttmp9, s0
	s_lshl_b64 s[10:11], s[10:11], 3
	v_mad_nc_u64_u32 v[2:3], s1, s0, v[0:1]
	s_lshl_b64 s[0:1], s[24:25], 3
	s_lshl_b64 s[18:19], s[18:19], 3
	s_add_nc_u64 s[22:23], s[22:23], s[0:1]
	s_add_nc_u64 s[8:9], s[8:9], s[10:11]
	;; [unrolled: 1-line block ×3, first 2 shown]
	s_delay_alu instid0(VALU_DEP_1) | instskip(SKIP_1) | instid1(VALU_DEP_2)
	v_lshlrev_b64_e32 v[6:7], 3, v[2:3]
	v_cmp_gt_u64_e64 s0, s[4:5], v[2:3]
	v_add_nc_u64_e32 v[2:3], s[10:11], v[6:7]
	v_add_nc_u64_e32 v[4:5], s[8:9], v[6:7]
	;; [unrolled: 1-line block ×3, first 2 shown]
	s_branch .LBB15_5
.LBB15_2:                               ;   in Loop: Header=BB15_5 Depth=1
	s_delay_alu instid0(VALU_DEP_1)
	v_add_f64_e32 v[10:11], v[14:15], v[10:11]
.LBB15_3:                               ;   in Loop: Header=BB15_5 Depth=1
	s_mul_u64 s[8:9], s[26:27], s[2:3]
	s_delay_alu instid0(SALU_CYCLE_1)
	v_lshl_add_u64 v[8:9], s[8:9], 3, v[6:7]
	global_store_b64 v[8:9], v[10:11], off
.LBB15_4:                               ;   in Loop: Header=BB15_5 Depth=1
	s_wait_xcnt 0x0
	s_or_b32 exec_lo, exec_lo, s4
	s_add_co_i32 s2, s2, 0x10000
	s_delay_alu instid0(SALU_CYCLE_1)
	s_cmp_lt_u32 s2, s28
	s_cbranch_scc0 .LBB15_11
.LBB15_5:                               ; =>This Inner Loop Header: Depth=1
	s_delay_alu instid0(VALU_DEP_4)
	s_and_saveexec_b32 s4, s0
	s_cbranch_execz .LBB15_4
; %bb.6:                                ;   in Loop: Header=BB15_5 Depth=1
	s_clause 0x1
	global_load_b64 v[8:9], v1, s[6:7]
	global_load_b64 v[12:13], v1, s[14:15]
	v_mov_b64_e32 v[10:11], 0
	s_wait_loadcnt 0x1
	v_cmp_eq_f64_e32 vcc_lo, 0, v[8:9]
	s_wait_loadcnt 0x0
	v_cmp_eq_f64_e64 s1, 0, v[12:13]
	s_and_b32 s5, vcc_lo, s1
	s_delay_alu instid0(SALU_CYCLE_1)
	s_and_b32 vcc_lo, exec_lo, s5
	s_cbranch_vccnz .LBB15_3
; %bb.7:                                ;   in Loop: Header=BB15_5 Depth=1
	v_mov_b64_e32 v[10:11], 0
	v_mov_b64_e32 v[14:15], 0
	s_and_b32 vcc_lo, exec_lo, s1
	s_cbranch_vccnz .LBB15_9
; %bb.8:                                ;   in Loop: Header=BB15_5 Depth=1
	s_mul_u64 s[8:9], s[20:21], s[2:3]
	s_delay_alu instid0(SALU_CYCLE_1)
	v_lshl_add_u64 v[14:15], s[8:9], 3, v[2:3]
	global_load_b64 v[14:15], v[14:15], off
	s_wait_loadcnt 0x0
	s_wait_xcnt 0x0
	v_mul_f64_e32 v[14:15], v[12:13], v[14:15]
.LBB15_9:                               ;   in Loop: Header=BB15_5 Depth=1
	v_cmp_eq_f64_e32 vcc_lo, 0, v[8:9]
	s_cbranch_vccnz .LBB15_2
; %bb.10:                               ;   in Loop: Header=BB15_5 Depth=1
	s_mul_u64 s[8:9], s[12:13], s[2:3]
	s_delay_alu instid0(SALU_CYCLE_1)
	v_lshl_add_u64 v[10:11], s[8:9], 3, v[4:5]
	global_load_b64 v[10:11], v[10:11], off
	s_wait_loadcnt 0x0
	s_wait_xcnt 0x0
	v_mul_f64_e32 v[10:11], v[8:9], v[10:11]
	s_branch .LBB15_2
.LBB15_11:
	s_endpgm
	.section	.rodata,"a",@progbits
	.p2align	6, 0x0
	.amdhsa_kernel _ZL22rocblas_geam_1D_deviceILi256EPKdS1_PdEvmT0_T1_llS3_S4_llT2_lli
		.amdhsa_group_segment_fixed_size 0
		.amdhsa_private_segment_fixed_size 0
		.amdhsa_kernarg_size 360
		.amdhsa_user_sgpr_count 2
		.amdhsa_user_sgpr_dispatch_ptr 0
		.amdhsa_user_sgpr_queue_ptr 0
		.amdhsa_user_sgpr_kernarg_segment_ptr 1
		.amdhsa_user_sgpr_dispatch_id 0
		.amdhsa_user_sgpr_kernarg_preload_length 0
		.amdhsa_user_sgpr_kernarg_preload_offset 0
		.amdhsa_user_sgpr_private_segment_size 0
		.amdhsa_wavefront_size32 1
		.amdhsa_uses_dynamic_stack 0
		.amdhsa_enable_private_segment 0
		.amdhsa_system_sgpr_workgroup_id_x 1
		.amdhsa_system_sgpr_workgroup_id_y 0
		.amdhsa_system_sgpr_workgroup_id_z 1
		.amdhsa_system_sgpr_workgroup_info 0
		.amdhsa_system_vgpr_workitem_id 0
		.amdhsa_next_free_vgpr 16
		.amdhsa_next_free_sgpr 32
		.amdhsa_named_barrier_count 0
		.amdhsa_reserve_vcc 1
		.amdhsa_float_round_mode_32 0
		.amdhsa_float_round_mode_16_64 0
		.amdhsa_float_denorm_mode_32 3
		.amdhsa_float_denorm_mode_16_64 3
		.amdhsa_fp16_overflow 0
		.amdhsa_memory_ordered 1
		.amdhsa_forward_progress 1
		.amdhsa_inst_pref_size 4
		.amdhsa_round_robin_scheduling 0
		.amdhsa_exception_fp_ieee_invalid_op 0
		.amdhsa_exception_fp_denorm_src 0
		.amdhsa_exception_fp_ieee_div_zero 0
		.amdhsa_exception_fp_ieee_overflow 0
		.amdhsa_exception_fp_ieee_underflow 0
		.amdhsa_exception_fp_ieee_inexact 0
		.amdhsa_exception_int_div_zero 0
	.end_amdhsa_kernel
	.section	.text._ZL22rocblas_geam_1D_deviceILi256EPKdS1_PdEvmT0_T1_llS3_S4_llT2_lli,"axG",@progbits,_ZL22rocblas_geam_1D_deviceILi256EPKdS1_PdEvmT0_T1_llS3_S4_llT2_lli,comdat
.Lfunc_end15:
	.size	_ZL22rocblas_geam_1D_deviceILi256EPKdS1_PdEvmT0_T1_llS3_S4_llT2_lli, .Lfunc_end15-_ZL22rocblas_geam_1D_deviceILi256EPKdS1_PdEvmT0_T1_llS3_S4_llT2_lli
                                        ; -- End function
	.set _ZL22rocblas_geam_1D_deviceILi256EPKdS1_PdEvmT0_T1_llS3_S4_llT2_lli.num_vgpr, 16
	.set _ZL22rocblas_geam_1D_deviceILi256EPKdS1_PdEvmT0_T1_llS3_S4_llT2_lli.num_agpr, 0
	.set _ZL22rocblas_geam_1D_deviceILi256EPKdS1_PdEvmT0_T1_llS3_S4_llT2_lli.numbered_sgpr, 32
	.set _ZL22rocblas_geam_1D_deviceILi256EPKdS1_PdEvmT0_T1_llS3_S4_llT2_lli.num_named_barrier, 0
	.set _ZL22rocblas_geam_1D_deviceILi256EPKdS1_PdEvmT0_T1_llS3_S4_llT2_lli.private_seg_size, 0
	.set _ZL22rocblas_geam_1D_deviceILi256EPKdS1_PdEvmT0_T1_llS3_S4_llT2_lli.uses_vcc, 1
	.set _ZL22rocblas_geam_1D_deviceILi256EPKdS1_PdEvmT0_T1_llS3_S4_llT2_lli.uses_flat_scratch, 0
	.set _ZL22rocblas_geam_1D_deviceILi256EPKdS1_PdEvmT0_T1_llS3_S4_llT2_lli.has_dyn_sized_stack, 0
	.set _ZL22rocblas_geam_1D_deviceILi256EPKdS1_PdEvmT0_T1_llS3_S4_llT2_lli.has_recursion, 0
	.set _ZL22rocblas_geam_1D_deviceILi256EPKdS1_PdEvmT0_T1_llS3_S4_llT2_lli.has_indirect_call, 0
	.section	.AMDGPU.csdata,"",@progbits
; Kernel info:
; codeLenInByte = 468
; TotalNumSgprs: 34
; NumVgprs: 16
; ScratchSize: 0
; MemoryBound: 0
; FloatMode: 240
; IeeeMode: 1
; LDSByteSize: 0 bytes/workgroup (compile time only)
; SGPRBlocks: 0
; VGPRBlocks: 0
; NumSGPRsForWavesPerEU: 34
; NumVGPRsForWavesPerEU: 16
; NamedBarCnt: 0
; Occupancy: 16
; WaveLimiterHint : 0
; COMPUTE_PGM_RSRC2:SCRATCH_EN: 0
; COMPUTE_PGM_RSRC2:USER_SGPR: 2
; COMPUTE_PGM_RSRC2:TRAP_HANDLER: 0
; COMPUTE_PGM_RSRC2:TGID_X_EN: 1
; COMPUTE_PGM_RSRC2:TGID_Y_EN: 0
; COMPUTE_PGM_RSRC2:TGID_Z_EN: 1
; COMPUTE_PGM_RSRC2:TIDIG_COMP_CNT: 0
	.section	.text._ZL19rocblas_geam_deviceILi16ELi16EdPKdPdEv18rocblas_operation_S3_iiT1_T2_lllS4_S5_lllT3_llli,"axG",@progbits,_ZL19rocblas_geam_deviceILi16ELi16EdPKdPdEv18rocblas_operation_S3_iiT1_T2_lllS4_S5_lllT3_llli,comdat
	.globl	_ZL19rocblas_geam_deviceILi16ELi16EdPKdPdEv18rocblas_operation_S3_iiT1_T2_lllS4_S5_lllT3_llli ; -- Begin function _ZL19rocblas_geam_deviceILi16ELi16EdPKdPdEv18rocblas_operation_S3_iiT1_T2_lllS4_S5_lllT3_llli
	.p2align	8
	.type	_ZL19rocblas_geam_deviceILi16ELi16EdPKdPdEv18rocblas_operation_S3_iiT1_T2_lllS4_S5_lllT3_llli,@function
_ZL19rocblas_geam_deviceILi16ELi16EdPKdPdEv18rocblas_operation_S3_iiT1_T2_lllS4_S5_lllT3_llli: ; @_ZL19rocblas_geam_deviceILi16ELi16EdPKdPdEv18rocblas_operation_S3_iiT1_T2_lllS4_S5_lllT3_llli
; %bb.0:
	s_load_b32 s33, s[0:1], 0x80
	s_bfe_u32 s2, ttmp6, 0x40014
	s_lshr_b32 s3, ttmp7, 16
	s_add_co_i32 s2, s2, 1
	s_bfe_u32 s5, ttmp6, 0x40008
	s_mul_i32 s4, s3, s2
	s_getreg_b32 s2, hwreg(HW_REG_IB_STS2, 6, 4)
	s_add_co_i32 s5, s5, s4
	s_cmp_eq_u32 s2, 0
	s_mov_b32 s35, 0
	s_cselect_b32 s34, s3, s5
	s_wait_kmcnt 0x0
	s_cmp_ge_u32 s34, s33
	s_cbranch_scc1 .LBB16_9
; %bb.1:
	s_load_b128 s[28:31], s[0:1], 0x0
	s_bfe_u32 s37, ttmp6, 0x4000c
	s_and_b32 s39, ttmp6, 15
	s_add_co_i32 s37, s37, 1
	v_and_b32_e32 v2, 0x3ff, v0
	s_mul_i32 s37, ttmp9, s37
	s_delay_alu instid0(SALU_CYCLE_1) | instskip(SKIP_2) | instid1(SALU_CYCLE_1)
	s_add_co_i32 s39, s39, s37
	s_wait_kmcnt 0x0
	s_add_co_i32 s3, s30, -1
	s_ashr_i32 s4, s3, 31
	s_delay_alu instid0(SALU_CYCLE_1) | instskip(NEXT) | instid1(SALU_CYCLE_1)
	s_lshr_b32 s4, s4, 28
	s_add_co_i32 s3, s3, s4
	s_load_b512 s[4:19], s[0:1], 0x10
	s_ashr_i32 s3, s3, 4
	s_delay_alu instid0(SALU_CYCLE_1) | instskip(SKIP_2) | instid1(SALU_CYCLE_3)
	s_add_co_i32 s38, s3, 1
	s_not_b32 s3, s3
	s_cvt_f32_u32 s20, s38
	v_rcp_iflag_f32_e32 v1, s20
	s_load_b256 s[20:27], s[0:1], 0x50
	v_nop
	s_delay_alu instid0(TRANS32_DEP_1) | instskip(SKIP_4) | instid1(SALU_CYCLE_3)
	v_readfirstlane_b32 s36, v1
	v_bfe_u32 v1, v0, 10, 10
	s_wait_kmcnt 0x0
	s_lshl_b64 s[18:19], s[18:19], 3
	s_mul_f32 s36, s36, 0x4f7ffffe
	s_cvt_u32_f32 s40, s36
	s_lshl_b64 s[36:37], s[8:9], 3
	s_delay_alu instid0(SALU_CYCLE_1) | instskip(NEXT) | instid1(SALU_CYCLE_1)
	s_add_nc_u64 s[6:7], s[6:7], s[36:37]
	s_mul_i32 s3, s3, s40
	s_lshl_b64 s[26:27], s[26:27], 3
	s_mul_hi_u32 s3, s40, s3
	s_delay_alu instid0(SALU_CYCLE_1) | instskip(SKIP_3) | instid1(SALU_CYCLE_1)
	s_add_co_i32 s40, s40, s3
	s_cmp_eq_u32 s2, 0
	s_load_b128 s[0:3], s[0:1], 0x70
	s_cselect_b32 s8, ttmp9, s39
	s_mul_hi_u32 s9, s8, s40
	s_delay_alu instid0(SALU_CYCLE_1) | instskip(SKIP_2) | instid1(SALU_CYCLE_1)
	s_mul_i32 s39, s9, s38
	s_add_co_i32 s40, s9, 1
	s_sub_co_i32 s39, s8, s39
	s_sub_co_i32 s41, s39, s38
	s_cmp_ge_u32 s39, s38
	s_cselect_b32 s9, s40, s9
	s_cselect_b32 s39, s41, s39
	s_add_co_i32 s40, s9, 1
	s_cmp_ge_u32 s39, s38
	s_cselect_b32 s9, s40, s9
	s_delay_alu instid0(SALU_CYCLE_1) | instskip(SKIP_2) | instid1(SALU_CYCLE_1)
	s_mul_i32 s38, s9, s38
	v_lshl_add_u32 v0, s9, 4, v1
	s_sub_co_i32 s8, s8, s38
	v_lshl_add_u32 v2, s8, 4, v2
	s_delay_alu instid0(VALU_DEP_2) | instskip(SKIP_1) | instid1(VALU_DEP_3)
	v_ashrrev_i32_e32 v1, 31, v0
	v_cmp_gt_i32_e32 vcc_lo, s31, v0
	v_ashrrev_i32_e32 v3, 31, v2
	s_delay_alu instid0(VALU_DEP_3)
	v_mad_nc_u64_u32 v[8:9], s20, v2, v[0:1]
	s_wait_kmcnt 0x0
	v_mul_u64_e32 v[4:5], s[0:1], v[0:1]
	v_mad_nc_u64_u32 v[6:7], s10, v2, v[0:1]
	v_mad_nc_u64_u32 v[10:11], s20, v0, v[2:3]
	;; [unrolled: 1-line block ×3, first 2 shown]
	v_cmp_gt_i32_e64 s0, s30, v2
	v_cmp_neq_f64_e64 s1, s[4:5], 0
	s_and_b32 s8, s0, vcc_lo
	v_mad_u32 v9, s21, v2, v9
	s_cmp_eq_u32 s28, 0x6f
	v_mad_u32 v7, s11, v2, v7
	v_mad_u32 v11, s21, v0, v11
	;; [unrolled: 1-line block ×3, first 2 shown]
	s_cselect_b32 vcc_lo, -1, 0
	s_cmp_eq_u32 s29, 0x6f
	s_cselect_b32 s0, -1, 0
	v_cndmask_b32_e32 v6, v6, v12, vcc_lo
	v_mad_u32 v9, s20, v3, v9
	v_mad_u32 v7, s10, v3, v7
	;; [unrolled: 1-line block ×4, first 2 shown]
	s_add_nc_u64 s[10:11], s[24:25], s[26:27]
	s_delay_alu instid0(SALU_CYCLE_1) | instskip(SKIP_2) | instid1(VALU_DEP_3)
	v_lshl_add_u64 v[0:1], v[4:5], 3, s[10:11]
	v_cndmask_b32_e64 v4, v8, v10, s0
	s_add_nc_u64 s[10:11], s[16:17], s[18:19]
	v_dual_cndmask_b32 v5, v9, v11, s0 :: v_dual_cndmask_b32 v7, v7, v13, vcc_lo
	v_cmp_neq_f64_e64 s0, s[14:15], 0
	v_lshl_add_u64 v[0:1], v[2:3], 3, v[0:1]
	s_delay_alu instid0(VALU_DEP_3) | instskip(NEXT) | instid1(VALU_DEP_4)
	v_lshl_add_u64 v[4:5], v[4:5], 3, s[10:11]
	v_lshl_add_u64 v[2:3], v[6:7], 3, s[6:7]
	s_branch .LBB16_4
.LBB16_2:                               ;   in Loop: Header=BB16_4 Depth=1
	s_wait_loadcnt 0x0
	s_wait_xcnt 0x0
	v_mul_f64_e32 v[6:7], s[14:15], v[6:7]
	s_mul_u64 s[10:11], s[2:3], s[34:35]
	s_delay_alu instid0(VALU_DEP_1)
	v_fmac_f64_e32 v[6:7], s[4:5], v[8:9]
	v_lshl_add_u64 v[8:9], s[10:11], 3, v[0:1]
	global_store_b64 v[8:9], v[6:7], off
.LBB16_3:                               ;   in Loop: Header=BB16_4 Depth=1
	s_wait_xcnt 0x0
	s_or_b32 exec_lo, exec_lo, s6
	s_add_co_i32 s34, s34, 0x10000
	s_delay_alu instid0(SALU_CYCLE_1)
	s_cmp_lt_u32 s34, s33
	s_cbranch_scc0 .LBB16_9
.LBB16_4:                               ; =>This Inner Loop Header: Depth=1
	s_and_saveexec_b32 s6, s8
	s_cbranch_execz .LBB16_3
; %bb.5:                                ;   in Loop: Header=BB16_4 Depth=1
	v_mov_b64_e32 v[6:7], 0
	v_mov_b64_e32 v[8:9], 0
	s_and_not1_b32 vcc_lo, exec_lo, s1
	s_cbranch_vccnz .LBB16_7
; %bb.6:                                ;   in Loop: Header=BB16_4 Depth=1
	s_mul_u64 s[10:11], s[12:13], s[34:35]
	s_delay_alu instid0(SALU_CYCLE_1)
	v_lshl_add_u64 v[8:9], s[10:11], 3, v[2:3]
	global_load_b64 v[8:9], v[8:9], off
.LBB16_7:                               ;   in Loop: Header=BB16_4 Depth=1
	s_and_not1_b32 vcc_lo, exec_lo, s0
	s_cbranch_vccnz .LBB16_2
; %bb.8:                                ;   in Loop: Header=BB16_4 Depth=1
	s_mul_u64 s[10:11], s[22:23], s[34:35]
	s_delay_alu instid0(SALU_CYCLE_1)
	v_lshl_add_u64 v[6:7], s[10:11], 3, v[4:5]
	global_load_b64 v[6:7], v[6:7], off
	s_branch .LBB16_2
.LBB16_9:
	s_endpgm
	.section	.rodata,"a",@progbits
	.p2align	6, 0x0
	.amdhsa_kernel _ZL19rocblas_geam_deviceILi16ELi16EdPKdPdEv18rocblas_operation_S3_iiT1_T2_lllS4_S5_lllT3_llli
		.amdhsa_group_segment_fixed_size 0
		.amdhsa_private_segment_fixed_size 0
		.amdhsa_kernarg_size 132
		.amdhsa_user_sgpr_count 2
		.amdhsa_user_sgpr_dispatch_ptr 0
		.amdhsa_user_sgpr_queue_ptr 0
		.amdhsa_user_sgpr_kernarg_segment_ptr 1
		.amdhsa_user_sgpr_dispatch_id 0
		.amdhsa_user_sgpr_kernarg_preload_length 0
		.amdhsa_user_sgpr_kernarg_preload_offset 0
		.amdhsa_user_sgpr_private_segment_size 0
		.amdhsa_wavefront_size32 1
		.amdhsa_uses_dynamic_stack 0
		.amdhsa_enable_private_segment 0
		.amdhsa_system_sgpr_workgroup_id_x 1
		.amdhsa_system_sgpr_workgroup_id_y 0
		.amdhsa_system_sgpr_workgroup_id_z 1
		.amdhsa_system_sgpr_workgroup_info 0
		.amdhsa_system_vgpr_workitem_id 1
		.amdhsa_next_free_vgpr 14
		.amdhsa_next_free_sgpr 42
		.amdhsa_named_barrier_count 0
		.amdhsa_reserve_vcc 1
		.amdhsa_float_round_mode_32 0
		.amdhsa_float_round_mode_16_64 0
		.amdhsa_float_denorm_mode_32 3
		.amdhsa_float_denorm_mode_16_64 3
		.amdhsa_fp16_overflow 0
		.amdhsa_memory_ordered 1
		.amdhsa_forward_progress 1
		.amdhsa_inst_pref_size 6
		.amdhsa_round_robin_scheduling 0
		.amdhsa_exception_fp_ieee_invalid_op 0
		.amdhsa_exception_fp_denorm_src 0
		.amdhsa_exception_fp_ieee_div_zero 0
		.amdhsa_exception_fp_ieee_overflow 0
		.amdhsa_exception_fp_ieee_underflow 0
		.amdhsa_exception_fp_ieee_inexact 0
		.amdhsa_exception_int_div_zero 0
	.end_amdhsa_kernel
	.section	.text._ZL19rocblas_geam_deviceILi16ELi16EdPKdPdEv18rocblas_operation_S3_iiT1_T2_lllS4_S5_lllT3_llli,"axG",@progbits,_ZL19rocblas_geam_deviceILi16ELi16EdPKdPdEv18rocblas_operation_S3_iiT1_T2_lllS4_S5_lllT3_llli,comdat
.Lfunc_end16:
	.size	_ZL19rocblas_geam_deviceILi16ELi16EdPKdPdEv18rocblas_operation_S3_iiT1_T2_lllS4_S5_lllT3_llli, .Lfunc_end16-_ZL19rocblas_geam_deviceILi16ELi16EdPKdPdEv18rocblas_operation_S3_iiT1_T2_lllS4_S5_lllT3_llli
                                        ; -- End function
	.set _ZL19rocblas_geam_deviceILi16ELi16EdPKdPdEv18rocblas_operation_S3_iiT1_T2_lllS4_S5_lllT3_llli.num_vgpr, 14
	.set _ZL19rocblas_geam_deviceILi16ELi16EdPKdPdEv18rocblas_operation_S3_iiT1_T2_lllS4_S5_lllT3_llli.num_agpr, 0
	.set _ZL19rocblas_geam_deviceILi16ELi16EdPKdPdEv18rocblas_operation_S3_iiT1_T2_lllS4_S5_lllT3_llli.numbered_sgpr, 42
	.set _ZL19rocblas_geam_deviceILi16ELi16EdPKdPdEv18rocblas_operation_S3_iiT1_T2_lllS4_S5_lllT3_llli.num_named_barrier, 0
	.set _ZL19rocblas_geam_deviceILi16ELi16EdPKdPdEv18rocblas_operation_S3_iiT1_T2_lllS4_S5_lllT3_llli.private_seg_size, 0
	.set _ZL19rocblas_geam_deviceILi16ELi16EdPKdPdEv18rocblas_operation_S3_iiT1_T2_lllS4_S5_lllT3_llli.uses_vcc, 1
	.set _ZL19rocblas_geam_deviceILi16ELi16EdPKdPdEv18rocblas_operation_S3_iiT1_T2_lllS4_S5_lllT3_llli.uses_flat_scratch, 0
	.set _ZL19rocblas_geam_deviceILi16ELi16EdPKdPdEv18rocblas_operation_S3_iiT1_T2_lllS4_S5_lllT3_llli.has_dyn_sized_stack, 0
	.set _ZL19rocblas_geam_deviceILi16ELi16EdPKdPdEv18rocblas_operation_S3_iiT1_T2_lllS4_S5_lllT3_llli.has_recursion, 0
	.set _ZL19rocblas_geam_deviceILi16ELi16EdPKdPdEv18rocblas_operation_S3_iiT1_T2_lllS4_S5_lllT3_llli.has_indirect_call, 0
	.section	.AMDGPU.csdata,"",@progbits
; Kernel info:
; codeLenInByte = 760
; TotalNumSgprs: 44
; NumVgprs: 14
; ScratchSize: 0
; MemoryBound: 0
; FloatMode: 240
; IeeeMode: 1
; LDSByteSize: 0 bytes/workgroup (compile time only)
; SGPRBlocks: 0
; VGPRBlocks: 0
; NumSGPRsForWavesPerEU: 44
; NumVGPRsForWavesPerEU: 14
; NamedBarCnt: 0
; Occupancy: 16
; WaveLimiterHint : 0
; COMPUTE_PGM_RSRC2:SCRATCH_EN: 0
; COMPUTE_PGM_RSRC2:USER_SGPR: 2
; COMPUTE_PGM_RSRC2:TRAP_HANDLER: 0
; COMPUTE_PGM_RSRC2:TGID_X_EN: 1
; COMPUTE_PGM_RSRC2:TGID_Y_EN: 0
; COMPUTE_PGM_RSRC2:TGID_Z_EN: 1
; COMPUTE_PGM_RSRC2:TIDIG_COMP_CNT: 1
	.section	.text._ZL19rocblas_geam_deviceILi16ELi16EPKdS1_PdEv18rocblas_operation_S3_iiT1_T2_lllS4_S5_lllT3_llli,"axG",@progbits,_ZL19rocblas_geam_deviceILi16ELi16EPKdS1_PdEv18rocblas_operation_S3_iiT1_T2_lllS4_S5_lllT3_llli,comdat
	.globl	_ZL19rocblas_geam_deviceILi16ELi16EPKdS1_PdEv18rocblas_operation_S3_iiT1_T2_lllS4_S5_lllT3_llli ; -- Begin function _ZL19rocblas_geam_deviceILi16ELi16EPKdS1_PdEv18rocblas_operation_S3_iiT1_T2_lllS4_S5_lllT3_llli
	.p2align	8
	.type	_ZL19rocblas_geam_deviceILi16ELi16EPKdS1_PdEv18rocblas_operation_S3_iiT1_T2_lllS4_S5_lllT3_llli,@function
_ZL19rocblas_geam_deviceILi16ELi16EPKdS1_PdEv18rocblas_operation_S3_iiT1_T2_lllS4_S5_lllT3_llli: ; @_ZL19rocblas_geam_deviceILi16ELi16EPKdS1_PdEv18rocblas_operation_S3_iiT1_T2_lllS4_S5_lllT3_llli
; %bb.0:
	s_load_b32 s33, s[0:1], 0x80
	s_bfe_u32 s2, ttmp6, 0x40014
	s_lshr_b32 s3, ttmp7, 16
	s_add_co_i32 s2, s2, 1
	s_bfe_u32 s5, ttmp6, 0x40008
	s_mul_i32 s4, s3, s2
	s_getreg_b32 s2, hwreg(HW_REG_IB_STS2, 6, 4)
	s_add_co_i32 s5, s5, s4
	s_cmp_eq_u32 s2, 0
	s_mov_b32 s35, 0
	s_cselect_b32 s34, s3, s5
	s_wait_kmcnt 0x0
	s_cmp_ge_u32 s34, s33
	s_cbranch_scc1 .LBB17_9
; %bb.1:
	s_load_b128 s[28:31], s[0:1], 0x0
	s_bfe_u32 s38, ttmp6, 0x4000c
	s_and_b32 s39, ttmp6, 15
	s_add_co_i32 s38, s38, 1
	v_and_b32_e32 v2, 0x3ff, v0
	s_mul_i32 s38, ttmp9, s38
	v_mov_b32_e32 v14, 0
	s_add_co_i32 s39, s39, s38
	s_wait_kmcnt 0x0
	s_add_co_i32 s3, s30, -1
	s_delay_alu instid0(SALU_CYCLE_1) | instskip(NEXT) | instid1(SALU_CYCLE_1)
	s_ashr_i32 s4, s3, 31
	s_lshr_b32 s4, s4, 28
	s_delay_alu instid0(SALU_CYCLE_1) | instskip(SKIP_2) | instid1(SALU_CYCLE_1)
	s_add_co_i32 s3, s3, s4
	s_load_b512 s[4:19], s[0:1], 0x10
	s_ashr_i32 s3, s3, 4
	s_add_co_i32 s36, s3, 1
	s_not_b32 s3, s3
	s_cvt_f32_u32 s20, s36
	s_delay_alu instid0(SALU_CYCLE_3) | instskip(SKIP_2) | instid1(TRANS32_DEP_1)
	v_rcp_iflag_f32_e32 v1, s20
	s_load_b256 s[20:27], s[0:1], 0x50
	v_nop
	v_readfirstlane_b32 s37, v1
	v_bfe_u32 v1, v0, 10, 10
	s_wait_kmcnt 0x0
	s_lshl_b64 s[18:19], s[18:19], 3
	s_mul_f32 s37, s37, 0x4f7ffffe
	s_lshl_b64 s[8:9], s[8:9], 3
	s_delay_alu instid0(SALU_CYCLE_1) | instskip(NEXT) | instid1(SALU_CYCLE_1)
	s_add_nc_u64 s[6:7], s[6:7], s[8:9]
	s_cvt_u32_f32 s37, s37
	s_delay_alu instid0(SALU_CYCLE_3) | instskip(SKIP_2) | instid1(SALU_CYCLE_1)
	s_mul_i32 s3, s3, s37
	s_lshl_b64 s[26:27], s[26:27], 3
	s_mul_hi_u32 s3, s37, s3
	s_add_co_i32 s37, s37, s3
	s_cmp_eq_u32 s2, 0
	s_load_b128 s[0:3], s[0:1], 0x70
	s_cselect_b32 s38, ttmp9, s39
	s_delay_alu instid0(SALU_CYCLE_1) | instskip(NEXT) | instid1(SALU_CYCLE_1)
	s_mul_hi_u32 s37, s38, s37
	s_mul_i32 s39, s37, s36
	s_add_co_i32 s40, s37, 1
	s_sub_co_i32 s39, s38, s39
	s_delay_alu instid0(SALU_CYCLE_1)
	s_sub_co_i32 s41, s39, s36
	s_cmp_ge_u32 s39, s36
	s_cselect_b32 s37, s40, s37
	s_cselect_b32 s39, s41, s39
	s_add_co_i32 s40, s37, 1
	s_cmp_ge_u32 s39, s36
	s_cselect_b32 s37, s40, s37
	s_delay_alu instid0(SALU_CYCLE_1) | instskip(SKIP_2) | instid1(SALU_CYCLE_1)
	s_mul_i32 s36, s37, s36
	v_lshl_add_u32 v0, s37, 4, v1
	s_sub_co_i32 s36, s38, s36
	v_lshl_add_u32 v2, s36, 4, v2
	s_delay_alu instid0(VALU_DEP_2) | instskip(SKIP_1) | instid1(VALU_DEP_3)
	v_ashrrev_i32_e32 v1, 31, v0
	v_cmp_gt_i32_e32 vcc_lo, s31, v0
	v_ashrrev_i32_e32 v3, 31, v2
	s_delay_alu instid0(VALU_DEP_3)
	v_mad_nc_u64_u32 v[6:7], s10, v2, v[0:1]
	v_mad_nc_u64_u32 v[8:9], s20, v2, v[0:1]
	s_wait_kmcnt 0x0
	v_mul_u64_e32 v[4:5], s[0:1], v[0:1]
	v_mad_nc_u64_u32 v[10:11], s20, v0, v[2:3]
	v_mad_nc_u64_u32 v[12:13], s10, v0, v[2:3]
	v_cmp_gt_i32_e64 s0, s30, v2
	s_and_b32 s1, s0, vcc_lo
	v_mad_u32 v7, s11, v2, v7
	v_mad_u32 v9, s21, v2, v9
	s_cmp_eq_u32 s28, 0x6f
	v_mad_u32 v11, s21, v0, v11
	v_mad_u32 v13, s11, v0, v13
	s_cselect_b32 vcc_lo, -1, 0
	s_cmp_eq_u32 s29, 0x6f
	s_cselect_b32 s0, -1, 0
	v_cndmask_b32_e32 v6, v6, v12, vcc_lo
	v_mad_u32 v7, s10, v3, v7
	v_mad_u32 v9, s20, v3, v9
	v_mad_u32 v11, s20, v1, v11
	v_mad_u32 v13, s10, v1, v13
	s_add_nc_u64 s[10:11], s[24:25], s[26:27]
	s_delay_alu instid0(SALU_CYCLE_1) | instskip(NEXT) | instid1(VALU_DEP_3)
	v_lshl_add_u64 v[0:1], v[4:5], 3, s[10:11]
	v_dual_cndmask_b32 v4, v8, v10, s0 :: v_dual_cndmask_b32 v5, v9, v11, s0
	s_delay_alu instid0(VALU_DEP_3) | instskip(SKIP_1) | instid1(VALU_DEP_3)
	v_cndmask_b32_e32 v7, v7, v13, vcc_lo
	s_add_nc_u64 s[10:11], s[16:17], s[18:19]
	v_lshl_add_u64 v[0:1], v[2:3], 3, v[0:1]
	s_delay_alu instid0(VALU_DEP_3) | instskip(NEXT) | instid1(VALU_DEP_3)
	v_lshl_add_u64 v[4:5], v[4:5], 3, s[10:11]
	v_lshl_add_u64 v[2:3], v[6:7], 3, s[6:7]
	s_branch .LBB17_4
.LBB17_2:                               ;   in Loop: Header=BB17_4 Depth=1
	s_wait_loadcnt 0x0
	v_mul_f64_e32 v[8:9], v[8:9], v[10:11]
	s_mul_u64 s[6:7], s[2:3], s[34:35]
	s_delay_alu instid0(VALU_DEP_1)
	v_fmac_f64_e32 v[8:9], v[6:7], v[12:13]
	v_lshl_add_u64 v[6:7], s[6:7], 3, v[0:1]
	global_store_b64 v[6:7], v[8:9], off
.LBB17_3:                               ;   in Loop: Header=BB17_4 Depth=1
	s_wait_xcnt 0x0
	s_or_b32 exec_lo, exec_lo, s0
	s_add_co_i32 s34, s34, 0x10000
	s_delay_alu instid0(SALU_CYCLE_1)
	s_cmp_lt_u32 s34, s33
	s_cbranch_scc0 .LBB17_9
.LBB17_4:                               ; =>This Inner Loop Header: Depth=1
	s_and_saveexec_b32 s0, s1
	s_cbranch_execz .LBB17_3
; %bb.5:                                ;   in Loop: Header=BB17_4 Depth=1
	s_clause 0x1
	global_load_b64 v[6:7], v14, s[4:5]
	global_load_b64 v[8:9], v14, s[14:15]
	v_mov_b64_e32 v[10:11], 0
	v_mov_b64_e32 v[12:13], 0
	s_wait_loadcnt 0x1
	v_cmp_eq_f64_e32 vcc_lo, 0, v[6:7]
	s_cbranch_vccnz .LBB17_7
; %bb.6:                                ;   in Loop: Header=BB17_4 Depth=1
	s_mul_u64 s[6:7], s[12:13], s[34:35]
	s_delay_alu instid0(SALU_CYCLE_1)
	v_lshl_add_u64 v[12:13], s[6:7], 3, v[2:3]
	global_load_b64 v[12:13], v[12:13], off
.LBB17_7:                               ;   in Loop: Header=BB17_4 Depth=1
	s_wait_loadcnt 0x0
	v_cmp_eq_f64_e32 vcc_lo, 0, v[8:9]
	s_cbranch_vccnz .LBB17_2
; %bb.8:                                ;   in Loop: Header=BB17_4 Depth=1
	s_mul_u64 s[6:7], s[22:23], s[34:35]
	s_delay_alu instid0(SALU_CYCLE_1)
	v_lshl_add_u64 v[10:11], s[6:7], 3, v[4:5]
	global_load_b64 v[10:11], v[10:11], off
	s_branch .LBB17_2
.LBB17_9:
	s_endpgm
	.section	.rodata,"a",@progbits
	.p2align	6, 0x0
	.amdhsa_kernel _ZL19rocblas_geam_deviceILi16ELi16EPKdS1_PdEv18rocblas_operation_S3_iiT1_T2_lllS4_S5_lllT3_llli
		.amdhsa_group_segment_fixed_size 0
		.amdhsa_private_segment_fixed_size 0
		.amdhsa_kernarg_size 132
		.amdhsa_user_sgpr_count 2
		.amdhsa_user_sgpr_dispatch_ptr 0
		.amdhsa_user_sgpr_queue_ptr 0
		.amdhsa_user_sgpr_kernarg_segment_ptr 1
		.amdhsa_user_sgpr_dispatch_id 0
		.amdhsa_user_sgpr_kernarg_preload_length 0
		.amdhsa_user_sgpr_kernarg_preload_offset 0
		.amdhsa_user_sgpr_private_segment_size 0
		.amdhsa_wavefront_size32 1
		.amdhsa_uses_dynamic_stack 0
		.amdhsa_enable_private_segment 0
		.amdhsa_system_sgpr_workgroup_id_x 1
		.amdhsa_system_sgpr_workgroup_id_y 0
		.amdhsa_system_sgpr_workgroup_id_z 1
		.amdhsa_system_sgpr_workgroup_info 0
		.amdhsa_system_vgpr_workitem_id 1
		.amdhsa_next_free_vgpr 15
		.amdhsa_next_free_sgpr 42
		.amdhsa_named_barrier_count 0
		.amdhsa_reserve_vcc 1
		.amdhsa_float_round_mode_32 0
		.amdhsa_float_round_mode_16_64 0
		.amdhsa_float_denorm_mode_32 3
		.amdhsa_float_denorm_mode_16_64 3
		.amdhsa_fp16_overflow 0
		.amdhsa_memory_ordered 1
		.amdhsa_forward_progress 1
		.amdhsa_inst_pref_size 7
		.amdhsa_round_robin_scheduling 0
		.amdhsa_exception_fp_ieee_invalid_op 0
		.amdhsa_exception_fp_denorm_src 0
		.amdhsa_exception_fp_ieee_div_zero 0
		.amdhsa_exception_fp_ieee_overflow 0
		.amdhsa_exception_fp_ieee_underflow 0
		.amdhsa_exception_fp_ieee_inexact 0
		.amdhsa_exception_int_div_zero 0
	.end_amdhsa_kernel
	.section	.text._ZL19rocblas_geam_deviceILi16ELi16EPKdS1_PdEv18rocblas_operation_S3_iiT1_T2_lllS4_S5_lllT3_llli,"axG",@progbits,_ZL19rocblas_geam_deviceILi16ELi16EPKdS1_PdEv18rocblas_operation_S3_iiT1_T2_lllS4_S5_lllT3_llli,comdat
.Lfunc_end17:
	.size	_ZL19rocblas_geam_deviceILi16ELi16EPKdS1_PdEv18rocblas_operation_S3_iiT1_T2_lllS4_S5_lllT3_llli, .Lfunc_end17-_ZL19rocblas_geam_deviceILi16ELi16EPKdS1_PdEv18rocblas_operation_S3_iiT1_T2_lllS4_S5_lllT3_llli
                                        ; -- End function
	.set _ZL19rocblas_geam_deviceILi16ELi16EPKdS1_PdEv18rocblas_operation_S3_iiT1_T2_lllS4_S5_lllT3_llli.num_vgpr, 15
	.set _ZL19rocblas_geam_deviceILi16ELi16EPKdS1_PdEv18rocblas_operation_S3_iiT1_T2_lllS4_S5_lllT3_llli.num_agpr, 0
	.set _ZL19rocblas_geam_deviceILi16ELi16EPKdS1_PdEv18rocblas_operation_S3_iiT1_T2_lllS4_S5_lllT3_llli.numbered_sgpr, 42
	.set _ZL19rocblas_geam_deviceILi16ELi16EPKdS1_PdEv18rocblas_operation_S3_iiT1_T2_lllS4_S5_lllT3_llli.num_named_barrier, 0
	.set _ZL19rocblas_geam_deviceILi16ELi16EPKdS1_PdEv18rocblas_operation_S3_iiT1_T2_lllS4_S5_lllT3_llli.private_seg_size, 0
	.set _ZL19rocblas_geam_deviceILi16ELi16EPKdS1_PdEv18rocblas_operation_S3_iiT1_T2_lllS4_S5_lllT3_llli.uses_vcc, 1
	.set _ZL19rocblas_geam_deviceILi16ELi16EPKdS1_PdEv18rocblas_operation_S3_iiT1_T2_lllS4_S5_lllT3_llli.uses_flat_scratch, 0
	.set _ZL19rocblas_geam_deviceILi16ELi16EPKdS1_PdEv18rocblas_operation_S3_iiT1_T2_lllS4_S5_lllT3_llli.has_dyn_sized_stack, 0
	.set _ZL19rocblas_geam_deviceILi16ELi16EPKdS1_PdEv18rocblas_operation_S3_iiT1_T2_lllS4_S5_lllT3_llli.has_recursion, 0
	.set _ZL19rocblas_geam_deviceILi16ELi16EPKdS1_PdEv18rocblas_operation_S3_iiT1_T2_lllS4_S5_lllT3_llli.has_indirect_call, 0
	.section	.AMDGPU.csdata,"",@progbits
; Kernel info:
; codeLenInByte = 780
; TotalNumSgprs: 44
; NumVgprs: 15
; ScratchSize: 0
; MemoryBound: 0
; FloatMode: 240
; IeeeMode: 1
; LDSByteSize: 0 bytes/workgroup (compile time only)
; SGPRBlocks: 0
; VGPRBlocks: 0
; NumSGPRsForWavesPerEU: 44
; NumVGPRsForWavesPerEU: 15
; NamedBarCnt: 0
; Occupancy: 16
; WaveLimiterHint : 0
; COMPUTE_PGM_RSRC2:SCRATCH_EN: 0
; COMPUTE_PGM_RSRC2:USER_SGPR: 2
; COMPUTE_PGM_RSRC2:TRAP_HANDLER: 0
; COMPUTE_PGM_RSRC2:TGID_X_EN: 1
; COMPUTE_PGM_RSRC2:TGID_Y_EN: 0
; COMPUTE_PGM_RSRC2:TGID_Z_EN: 1
; COMPUTE_PGM_RSRC2:TIDIG_COMP_CNT: 1
	.section	.text._ZL31rocblas_geam_zero_matrix_deviceILi16ELi16EP19rocblas_complex_numIfEEviiT1_llli,"axG",@progbits,_ZL31rocblas_geam_zero_matrix_deviceILi16ELi16EP19rocblas_complex_numIfEEviiT1_llli,comdat
	.globl	_ZL31rocblas_geam_zero_matrix_deviceILi16ELi16EP19rocblas_complex_numIfEEviiT1_llli ; -- Begin function _ZL31rocblas_geam_zero_matrix_deviceILi16ELi16EP19rocblas_complex_numIfEEviiT1_llli
	.p2align	8
	.type	_ZL31rocblas_geam_zero_matrix_deviceILi16ELi16EP19rocblas_complex_numIfEEviiT1_llli,@function
_ZL31rocblas_geam_zero_matrix_deviceILi16ELi16EP19rocblas_complex_numIfEEviiT1_llli: ; @_ZL31rocblas_geam_zero_matrix_deviceILi16ELi16EP19rocblas_complex_numIfEEviiT1_llli
; %bb.0:
	s_load_b32 s12, s[0:1], 0x28
	s_bfe_u32 s2, ttmp6, 0x40014
	s_lshr_b32 s3, ttmp7, 16
	s_add_co_i32 s2, s2, 1
	s_bfe_u32 s4, ttmp6, 0x40008
	s_mul_i32 s2, s3, s2
	s_getreg_b32 s13, hwreg(HW_REG_IB_STS2, 6, 4)
	s_add_co_i32 s4, s4, s2
	s_cmp_eq_u32 s13, 0
	s_cselect_b32 s2, s3, s4
	s_mov_b32 s3, 0
	s_wait_kmcnt 0x0
	s_cmp_ge_u32 s2, s12
	s_cbranch_scc1 .LBB18_5
; %bb.1:
	s_load_b64 s[14:15], s[0:1], 0x0
	s_bfe_u32 s18, ttmp6, 0x4000c
	s_delay_alu instid0(SALU_CYCLE_1) | instskip(SKIP_2) | instid1(SALU_CYCLE_1)
	s_add_co_i32 s18, s18, 1
	s_wait_kmcnt 0x0
	s_add_co_i32 s4, s14, -1
	s_ashr_i32 s5, s4, 31
	s_delay_alu instid0(SALU_CYCLE_1) | instskip(NEXT) | instid1(SALU_CYCLE_1)
	s_lshr_b32 s5, s5, 28
	s_add_co_i32 s4, s4, s5
	s_delay_alu instid0(SALU_CYCLE_1) | instskip(NEXT) | instid1(SALU_CYCLE_1)
	s_ashr_i32 s16, s4, 4
	s_add_co_i32 s17, s16, 1
	s_delay_alu instid0(SALU_CYCLE_1) | instskip(NEXT) | instid1(SALU_CYCLE_3)
	s_cvt_f32_u32 s4, s17
	v_rcp_iflag_f32_e32 v1, s4
	s_load_b256 s[4:11], s[0:1], 0x8
	s_wait_xcnt 0x0
	s_and_b32 s1, ttmp6, 15
	v_nop
	s_delay_alu instid0(TRANS32_DEP_1) | instskip(SKIP_3) | instid1(SALU_CYCLE_3)
	v_readfirstlane_b32 s0, v1
	v_bfe_u32 v1, v0, 10, 10
	v_and_b32_e32 v0, 0x3ff, v0
	s_mul_f32 s0, s0, 0x4f7ffffe
	s_cvt_u32_f32 s19, s0
	s_not_b32 s0, s16
	s_mul_i32 s16, ttmp9, s18
	s_delay_alu instid0(SALU_CYCLE_1) | instskip(SKIP_1) | instid1(SALU_CYCLE_1)
	s_add_co_i32 s16, s1, s16
	s_mul_i32 s0, s0, s19
	s_mul_hi_u32 s18, s19, s0
	s_wait_kmcnt 0x0
	s_lshl_b64 s[0:1], s[6:7], 3
	s_add_co_i32 s19, s19, s18
	s_cmp_eq_u32 s13, 0
	s_add_nc_u64 s[0:1], s[4:5], s[0:1]
	s_cselect_b32 s6, ttmp9, s16
	s_delay_alu instid0(SALU_CYCLE_1) | instskip(NEXT) | instid1(SALU_CYCLE_1)
	s_mul_hi_u32 s7, s6, s19
	s_mul_i32 s13, s7, s17
	s_add_co_i32 s16, s7, 1
	s_sub_co_i32 s13, s6, s13
	s_delay_alu instid0(SALU_CYCLE_1)
	s_sub_co_i32 s18, s13, s17
	s_cmp_ge_u32 s13, s17
	s_cselect_b32 s7, s16, s7
	s_cselect_b32 s13, s18, s13
	s_add_co_i32 s16, s7, 1
	s_cmp_ge_u32 s13, s17
	s_cselect_b32 s7, s16, s7
	s_delay_alu instid0(SALU_CYCLE_1) | instskip(SKIP_1) | instid1(SALU_CYCLE_1)
	v_lshl_add_u32 v2, s7, 4, v1
	s_mul_i32 s7, s7, s17
	s_sub_co_i32 s6, s6, s7
	s_delay_alu instid0(VALU_DEP_1) | instskip(SKIP_2) | instid1(VALU_DEP_3)
	v_ashrrev_i32_e32 v3, 31, v2
	v_lshl_add_u32 v6, s6, 4, v0
	v_mov_b64_e32 v[0:1], 0
	v_mul_u64_e32 v[4:5], s[8:9], v[2:3]
	s_delay_alu instid0(VALU_DEP_3) | instskip(SKIP_1) | instid1(VALU_DEP_3)
	v_ashrrev_i32_e32 v7, 31, v6
	v_cmp_gt_i32_e32 vcc_lo, s14, v6
	v_lshl_add_u64 v[4:5], v[4:5], 3, s[0:1]
	v_cmp_gt_i32_e64 s0, s15, v2
	s_delay_alu instid0(VALU_DEP_2)
	v_lshl_add_u64 v[2:3], v[6:7], 3, v[4:5]
	s_and_b32 s0, vcc_lo, s0
	s_branch .LBB18_3
.LBB18_2:                               ;   in Loop: Header=BB18_3 Depth=1
	s_wait_xcnt 0x0
	s_or_b32 exec_lo, exec_lo, s1
	s_add_co_i32 s2, s2, 0x10000
	s_delay_alu instid0(SALU_CYCLE_1)
	s_cmp_lt_u32 s2, s12
	s_cbranch_scc0 .LBB18_5
.LBB18_3:                               ; =>This Inner Loop Header: Depth=1
	s_and_saveexec_b32 s1, s0
	s_cbranch_execz .LBB18_2
; %bb.4:                                ;   in Loop: Header=BB18_3 Depth=1
	s_mul_u64 s[4:5], s[10:11], s[2:3]
	s_delay_alu instid0(SALU_CYCLE_1)
	v_lshl_add_u64 v[4:5], s[4:5], 3, v[2:3]
	global_store_b64 v[4:5], v[0:1], off
	s_branch .LBB18_2
.LBB18_5:
	s_endpgm
	.section	.rodata,"a",@progbits
	.p2align	6, 0x0
	.amdhsa_kernel _ZL31rocblas_geam_zero_matrix_deviceILi16ELi16EP19rocblas_complex_numIfEEviiT1_llli
		.amdhsa_group_segment_fixed_size 0
		.amdhsa_private_segment_fixed_size 0
		.amdhsa_kernarg_size 44
		.amdhsa_user_sgpr_count 2
		.amdhsa_user_sgpr_dispatch_ptr 0
		.amdhsa_user_sgpr_queue_ptr 0
		.amdhsa_user_sgpr_kernarg_segment_ptr 1
		.amdhsa_user_sgpr_dispatch_id 0
		.amdhsa_user_sgpr_kernarg_preload_length 0
		.amdhsa_user_sgpr_kernarg_preload_offset 0
		.amdhsa_user_sgpr_private_segment_size 0
		.amdhsa_wavefront_size32 1
		.amdhsa_uses_dynamic_stack 0
		.amdhsa_enable_private_segment 0
		.amdhsa_system_sgpr_workgroup_id_x 1
		.amdhsa_system_sgpr_workgroup_id_y 0
		.amdhsa_system_sgpr_workgroup_id_z 1
		.amdhsa_system_sgpr_workgroup_info 0
		.amdhsa_system_vgpr_workitem_id 1
		.amdhsa_next_free_vgpr 8
		.amdhsa_next_free_sgpr 20
		.amdhsa_named_barrier_count 0
		.amdhsa_reserve_vcc 1
		.amdhsa_float_round_mode_32 0
		.amdhsa_float_round_mode_16_64 0
		.amdhsa_float_denorm_mode_32 3
		.amdhsa_float_denorm_mode_16_64 3
		.amdhsa_fp16_overflow 0
		.amdhsa_memory_ordered 1
		.amdhsa_forward_progress 1
		.amdhsa_inst_pref_size 4
		.amdhsa_round_robin_scheduling 0
		.amdhsa_exception_fp_ieee_invalid_op 0
		.amdhsa_exception_fp_denorm_src 0
		.amdhsa_exception_fp_ieee_div_zero 0
		.amdhsa_exception_fp_ieee_overflow 0
		.amdhsa_exception_fp_ieee_underflow 0
		.amdhsa_exception_fp_ieee_inexact 0
		.amdhsa_exception_int_div_zero 0
	.end_amdhsa_kernel
	.section	.text._ZL31rocblas_geam_zero_matrix_deviceILi16ELi16EP19rocblas_complex_numIfEEviiT1_llli,"axG",@progbits,_ZL31rocblas_geam_zero_matrix_deviceILi16ELi16EP19rocblas_complex_numIfEEviiT1_llli,comdat
.Lfunc_end18:
	.size	_ZL31rocblas_geam_zero_matrix_deviceILi16ELi16EP19rocblas_complex_numIfEEviiT1_llli, .Lfunc_end18-_ZL31rocblas_geam_zero_matrix_deviceILi16ELi16EP19rocblas_complex_numIfEEviiT1_llli
                                        ; -- End function
	.set _ZL31rocblas_geam_zero_matrix_deviceILi16ELi16EP19rocblas_complex_numIfEEviiT1_llli.num_vgpr, 8
	.set _ZL31rocblas_geam_zero_matrix_deviceILi16ELi16EP19rocblas_complex_numIfEEviiT1_llli.num_agpr, 0
	.set _ZL31rocblas_geam_zero_matrix_deviceILi16ELi16EP19rocblas_complex_numIfEEviiT1_llli.numbered_sgpr, 20
	.set _ZL31rocblas_geam_zero_matrix_deviceILi16ELi16EP19rocblas_complex_numIfEEviiT1_llli.num_named_barrier, 0
	.set _ZL31rocblas_geam_zero_matrix_deviceILi16ELi16EP19rocblas_complex_numIfEEviiT1_llli.private_seg_size, 0
	.set _ZL31rocblas_geam_zero_matrix_deviceILi16ELi16EP19rocblas_complex_numIfEEviiT1_llli.uses_vcc, 1
	.set _ZL31rocblas_geam_zero_matrix_deviceILi16ELi16EP19rocblas_complex_numIfEEviiT1_llli.uses_flat_scratch, 0
	.set _ZL31rocblas_geam_zero_matrix_deviceILi16ELi16EP19rocblas_complex_numIfEEviiT1_llli.has_dyn_sized_stack, 0
	.set _ZL31rocblas_geam_zero_matrix_deviceILi16ELi16EP19rocblas_complex_numIfEEviiT1_llli.has_recursion, 0
	.set _ZL31rocblas_geam_zero_matrix_deviceILi16ELi16EP19rocblas_complex_numIfEEviiT1_llli.has_indirect_call, 0
	.section	.AMDGPU.csdata,"",@progbits
; Kernel info:
; codeLenInByte = 460
; TotalNumSgprs: 22
; NumVgprs: 8
; ScratchSize: 0
; MemoryBound: 0
; FloatMode: 240
; IeeeMode: 1
; LDSByteSize: 0 bytes/workgroup (compile time only)
; SGPRBlocks: 0
; VGPRBlocks: 0
; NumSGPRsForWavesPerEU: 22
; NumVGPRsForWavesPerEU: 8
; NamedBarCnt: 0
; Occupancy: 16
; WaveLimiterHint : 0
; COMPUTE_PGM_RSRC2:SCRATCH_EN: 0
; COMPUTE_PGM_RSRC2:USER_SGPR: 2
; COMPUTE_PGM_RSRC2:TRAP_HANDLER: 0
; COMPUTE_PGM_RSRC2:TGID_X_EN: 1
; COMPUTE_PGM_RSRC2:TGID_Y_EN: 0
; COMPUTE_PGM_RSRC2:TGID_Z_EN: 1
; COMPUTE_PGM_RSRC2:TIDIG_COMP_CNT: 1
	.section	.text._ZL27rocblas_geam_inplace_deviceILi16ELi16E19rocblas_complex_numIfEPKS1_PS1_Ev18rocblas_operation_iiT1_S6_T2_lllT3_llli,"axG",@progbits,_ZL27rocblas_geam_inplace_deviceILi16ELi16E19rocblas_complex_numIfEPKS1_PS1_Ev18rocblas_operation_iiT1_S6_T2_lllT3_llli,comdat
	.globl	_ZL27rocblas_geam_inplace_deviceILi16ELi16E19rocblas_complex_numIfEPKS1_PS1_Ev18rocblas_operation_iiT1_S6_T2_lllT3_llli ; -- Begin function _ZL27rocblas_geam_inplace_deviceILi16ELi16E19rocblas_complex_numIfEPKS1_PS1_Ev18rocblas_operation_iiT1_S6_T2_lllT3_llli
	.p2align	8
	.type	_ZL27rocblas_geam_inplace_deviceILi16ELi16E19rocblas_complex_numIfEPKS1_PS1_Ev18rocblas_operation_iiT1_S6_T2_lllT3_llli,@function
_ZL27rocblas_geam_inplace_deviceILi16ELi16E19rocblas_complex_numIfEPKS1_PS1_Ev18rocblas_operation_iiT1_S6_T2_lllT3_llli: ; @_ZL27rocblas_geam_inplace_deviceILi16ELi16E19rocblas_complex_numIfEPKS1_PS1_Ev18rocblas_operation_iiT1_S6_T2_lllT3_llli
; %bb.0:
	s_load_b32 s27, s[0:1], 0x60
	s_bfe_u32 s2, ttmp6, 0x40014
	s_lshr_b32 s3, ttmp7, 16
	s_add_co_i32 s2, s2, 1
	s_bfe_u32 s4, ttmp6, 0x40008
	s_mul_i32 s2, s3, s2
	s_getreg_b32 s28, hwreg(HW_REG_IB_STS2, 6, 4)
	s_add_co_i32 s4, s4, s2
	s_cmp_eq_u32 s28, 0
	s_cselect_b32 s2, s3, s4
	s_mov_b32 s3, 0
	s_wait_kmcnt 0x0
	s_cmp_ge_u32 s2, s27
	s_cbranch_scc1 .LBB19_14
; %bb.1:
	s_clause 0x1
	s_load_b96 s[24:26], s[0:1], 0x0
	s_load_b128 s[20:23], s[0:1], 0xc
	s_and_b32 s30, ttmp6, 15
	s_wait_kmcnt 0x0
	s_add_co_i32 s4, s25, -1
	s_delay_alu instid0(SALU_CYCLE_1) | instskip(NEXT) | instid1(SALU_CYCLE_1)
	s_ashr_i32 s5, s4, 31
	s_lshr_b32 s5, s5, 28
	s_delay_alu instid0(SALU_CYCLE_1) | instskip(NEXT) | instid1(SALU_CYCLE_1)
	s_add_co_i32 s4, s4, s5
	s_ashr_i32 s29, s4, 4
	s_delay_alu instid0(SALU_CYCLE_1) | instskip(SKIP_2) | instid1(SALU_CYCLE_3)
	s_add_co_i32 s33, s29, 1
	s_not_b32 s29, s29
	s_cvt_f32_u32 s4, s33
	v_rcp_iflag_f32_e32 v1, s4
	s_load_b512 s[4:19], s[0:1], 0x20
	s_wait_xcnt 0x0
	s_bfe_u32 s1, ttmp6, 0x4000c
	s_delay_alu instid0(SALU_CYCLE_1) | instskip(NEXT) | instid1(SALU_CYCLE_1)
	s_add_co_i32 s1, s1, 1
	s_mul_i32 s1, ttmp9, s1
	v_nop
	v_readfirstlane_b32 s0, v1
	s_add_co_i32 s1, s30, s1
	v_bfe_u32 v1, v0, 10, 10
	v_and_b32_e32 v0, 0x3ff, v0
	s_mul_f32 s0, s0, 0x4f7ffffe
	s_delay_alu instid0(SALU_CYCLE_3) | instskip(NEXT) | instid1(SALU_CYCLE_3)
	s_cvt_u32_f32 s0, s0
	s_mul_i32 s29, s29, s0
	s_wait_kmcnt 0x0
	s_lshl_b64 s[30:31], s[14:15], 3
	s_mul_hi_u32 s14, s0, s29
	s_lshl_b64 s[34:35], s[6:7], 3
	s_add_co_i32 s0, s0, s14
	s_cmp_eq_u32 s28, 0
	s_add_nc_u64 s[4:5], s[4:5], s[34:35]
	s_cselect_b32 s1, ttmp9, s1
	s_delay_alu instid0(SALU_CYCLE_1) | instskip(NEXT) | instid1(SALU_CYCLE_1)
	s_mul_hi_u32 s0, s1, s0
	s_mul_i32 s6, s0, s33
	s_add_co_i32 s7, s0, 1
	s_sub_co_i32 s6, s1, s6
	s_delay_alu instid0(SALU_CYCLE_1)
	s_sub_co_i32 s14, s6, s33
	s_cmp_ge_u32 s6, s33
	s_cselect_b32 s0, s7, s0
	s_cselect_b32 s6, s14, s6
	s_add_co_i32 s7, s0, 1
	s_cmp_ge_u32 s6, s33
	s_cselect_b32 s0, s7, s0
	s_delay_alu instid0(SALU_CYCLE_1)
	s_mul_i32 s6, s0, s33
	v_lshl_add_u32 v2, s0, 4, v1
	s_sub_co_i32 s1, s1, s6
	s_add_nc_u64 s[6:7], s[12:13], s[30:31]
	v_lshl_add_u32 v4, s1, 4, v0
	s_or_b32 s1, s22, s23
	v_ashrrev_i32_e32 v3, 31, v2
	v_cmp_gt_i32_e32 vcc_lo, s26, v2
	s_bitset0_b32 s1, 31
	v_ashrrev_i32_e32 v5, 31, v4
	v_cmp_gt_i32_e64 s0, s25, v4
	v_mad_nc_u64_u32 v[6:7], s8, v4, v[2:3]
	s_delay_alu instid0(VALU_DEP_3) | instskip(SKIP_1) | instid1(VALU_DEP_3)
	v_mad_nc_u64_u32 v[8:9], s8, v2, v[4:5]
	v_mad_nc_u64_u32 v[0:1], s16, v2, v[4:5]
	v_mad_u32 v4, s9, v4, v7
	s_delay_alu instid0(VALU_DEP_3) | instskip(NEXT) | instid1(VALU_DEP_3)
	v_mad_u32 v7, s9, v2, v9
	v_mad_u32 v1, s17, v2, v1
	s_and_b32 s9, s0, vcc_lo
	s_cmp_lg_u32 s1, 0
	s_mov_b32 s0, s23
	s_cselect_b32 s14, -1, 0
	s_cmp_eq_u32 s24, 0x6f
	s_delay_alu instid0(VALU_DEP_3) | instskip(SKIP_2) | instid1(VALU_DEP_3)
	v_mad_u32 v2, s8, v5, v4
	s_cselect_b32 vcc_lo, -1, 0
	s_cmp_eq_u32 s24, 0x71
	v_mad_u32 v4, s8, v3, v7
	s_cselect_b32 s8, -1, 0
	s_cmp_neq_f32 s20, 0
	v_mad_u32 v1, s16, v3, v1
	s_cselect_b32 s1, -1, 0
	s_cmp_neq_f32 s21, 0
	s_cselect_b32 s12, -1, 0
	s_delay_alu instid0(VALU_DEP_2) | instskip(SKIP_3) | instid1(VALU_DEP_1)
	v_cndmask_b32_e32 v5, v2, v4, vcc_lo
	v_cndmask_b32_e32 v4, v6, v8, vcc_lo
	s_or_b32 s12, s1, s12
	s_mov_b32 s1, s22
	v_lshl_add_u64 v[2:3], v[4:5], 3, s[4:5]
	s_mov_b32 s4, s21
	s_mov_b32 s5, s20
	s_branch .LBB19_4
.LBB19_2:                               ;   in Loop: Header=BB19_4 Depth=1
	global_store_b64 v[4:5], v[6:7], off
.LBB19_3:                               ;   in Loop: Header=BB19_4 Depth=1
	s_wait_xcnt 0x0
	s_or_b32 exec_lo, exec_lo, s13
	s_add_co_i32 s2, s2, 0x10000
	s_delay_alu instid0(SALU_CYCLE_1)
	s_cmp_lt_u32 s2, s27
	s_cbranch_scc0 .LBB19_14
.LBB19_4:                               ; =>This Inner Loop Header: Depth=1
	s_and_saveexec_b32 s13, s9
	s_cbranch_execz .LBB19_3
; %bb.5:                                ;   in Loop: Header=BB19_4 Depth=1
	s_mul_u64 s[16:17], s[18:19], s[2:3]
	s_and_b32 vcc_lo, exec_lo, s14
	s_lshl_b64 s[16:17], s[16:17], 3
	s_mov_b32 s15, -1
	s_add_nc_u64 s[16:17], s[6:7], s[16:17]
	s_delay_alu instid0(SALU_CYCLE_1)
	v_lshl_add_u64 v[4:5], v[0:1], 3, s[16:17]
	s_cbranch_vccz .LBB19_11
; %bb.6:                                ;   in Loop: Header=BB19_4 Depth=1
	s_mul_u64 s[16:17], s[10:11], s[2:3]
	v_mov_b64_e32 v[8:9], s[0:1]
	v_lshl_add_u64 v[6:7], s[16:17], 3, v[2:3]
	v_mov_b64_e32 v[12:13], s[22:23]
	s_and_b32 vcc_lo, exec_lo, s12
	global_load_b64 v[6:7], v[6:7], off
	s_wait_loadcnt 0x0
	v_cndmask_b32_e64 v10, v7, -v7, s8
	s_delay_alu instid0(VALU_DEP_1) | instskip(NEXT) | instid1(VALU_DEP_1)
	v_pk_mul_f32 v[8:9], v[10:11], v[8:9] op_sel_hi:[0,1]
	v_pk_fma_f32 v[10:11], v[6:7], v[12:13], v[8:9] op_sel_hi:[0,1,1]
	s_wait_xcnt 0x0
	v_pk_fma_f32 v[6:7], v[6:7], v[12:13], v[8:9] neg_lo:[0,0,1] neg_hi:[0,0,1]
	s_delay_alu instid0(VALU_DEP_2)
	v_mov_b32_e32 v7, v11
	s_cbranch_vccz .LBB19_8
; %bb.7:                                ;   in Loop: Header=BB19_4 Depth=1
	global_load_b64 v[8:9], v[4:5], off
	v_mov_b64_e32 v[10:11], s[4:5]
	v_mov_b64_e32 v[12:13], s[20:21]
	s_mov_b32 s15, 0
	s_wait_loadcnt 0x0
	s_delay_alu instid0(VALU_DEP_2) | instskip(NEXT) | instid1(VALU_DEP_1)
	v_pk_mul_f32 v[10:11], v[8:9], v[10:11] op_sel:[1,0]
	v_pk_fma_f32 v[14:15], v[8:9], v[12:13], v[10:11] op_sel_hi:[0,1,1]
	v_pk_fma_f32 v[8:9], v[8:9], v[12:13], v[10:11] neg_lo:[0,0,1] neg_hi:[0,0,1]
	s_delay_alu instid0(VALU_DEP_2) | instskip(NEXT) | instid1(VALU_DEP_1)
	v_mov_b32_e32 v9, v15
	v_pk_add_f32 v[8:9], v[6:7], v[8:9]
	global_store_b64 v[4:5], v[8:9], off
.LBB19_8:                               ;   in Loop: Header=BB19_4 Depth=1
	s_and_not1_b32 vcc_lo, exec_lo, s15
	s_cbranch_vccnz .LBB19_10
; %bb.9:                                ;   in Loop: Header=BB19_4 Depth=1
	global_store_b64 v[4:5], v[6:7], off
.LBB19_10:                              ;   in Loop: Header=BB19_4 Depth=1
	s_mov_b32 s15, 0
.LBB19_11:                              ;   in Loop: Header=BB19_4 Depth=1
	s_delay_alu instid0(SALU_CYCLE_1)
	s_and_not1_b32 vcc_lo, exec_lo, s15
	s_cbranch_vccnz .LBB19_3
; %bb.12:                               ;   in Loop: Header=BB19_4 Depth=1
	s_wait_xcnt 0x0
	v_dual_mov_b32 v6, 0 :: v_dual_mov_b32 v7, 0
	s_and_not1_b32 vcc_lo, exec_lo, s12
	s_cbranch_vccnz .LBB19_2
; %bb.13:                               ;   in Loop: Header=BB19_4 Depth=1
	global_load_b64 v[6:7], v[4:5], off
	v_mov_b64_e32 v[8:9], s[4:5]
	v_mov_b64_e32 v[10:11], s[20:21]
	s_wait_loadcnt 0x0
	s_delay_alu instid0(VALU_DEP_2) | instskip(NEXT) | instid1(VALU_DEP_1)
	v_pk_mul_f32 v[8:9], v[6:7], v[8:9] op_sel:[1,0]
	v_pk_fma_f32 v[12:13], v[6:7], v[10:11], v[8:9] op_sel_hi:[0,1,1]
	v_pk_fma_f32 v[6:7], v[6:7], v[10:11], v[8:9] neg_lo:[0,0,1] neg_hi:[0,0,1]
	s_delay_alu instid0(VALU_DEP_2)
	v_mov_b32_e32 v7, v13
	s_branch .LBB19_2
.LBB19_14:
	s_endpgm
	.section	.rodata,"a",@progbits
	.p2align	6, 0x0
	.amdhsa_kernel _ZL27rocblas_geam_inplace_deviceILi16ELi16E19rocblas_complex_numIfEPKS1_PS1_Ev18rocblas_operation_iiT1_S6_T2_lllT3_llli
		.amdhsa_group_segment_fixed_size 0
		.amdhsa_private_segment_fixed_size 0
		.amdhsa_kernarg_size 100
		.amdhsa_user_sgpr_count 2
		.amdhsa_user_sgpr_dispatch_ptr 0
		.amdhsa_user_sgpr_queue_ptr 0
		.amdhsa_user_sgpr_kernarg_segment_ptr 1
		.amdhsa_user_sgpr_dispatch_id 0
		.amdhsa_user_sgpr_kernarg_preload_length 0
		.amdhsa_user_sgpr_kernarg_preload_offset 0
		.amdhsa_user_sgpr_private_segment_size 0
		.amdhsa_wavefront_size32 1
		.amdhsa_uses_dynamic_stack 0
		.amdhsa_enable_private_segment 0
		.amdhsa_system_sgpr_workgroup_id_x 1
		.amdhsa_system_sgpr_workgroup_id_y 0
		.amdhsa_system_sgpr_workgroup_id_z 1
		.amdhsa_system_sgpr_workgroup_info 0
		.amdhsa_system_vgpr_workitem_id 1
		.amdhsa_next_free_vgpr 16
		.amdhsa_next_free_sgpr 36
		.amdhsa_named_barrier_count 0
		.amdhsa_reserve_vcc 1
		.amdhsa_float_round_mode_32 0
		.amdhsa_float_round_mode_16_64 0
		.amdhsa_float_denorm_mode_32 3
		.amdhsa_float_denorm_mode_16_64 3
		.amdhsa_fp16_overflow 0
		.amdhsa_memory_ordered 1
		.amdhsa_forward_progress 1
		.amdhsa_inst_pref_size 8
		.amdhsa_round_robin_scheduling 0
		.amdhsa_exception_fp_ieee_invalid_op 0
		.amdhsa_exception_fp_denorm_src 0
		.amdhsa_exception_fp_ieee_div_zero 0
		.amdhsa_exception_fp_ieee_overflow 0
		.amdhsa_exception_fp_ieee_underflow 0
		.amdhsa_exception_fp_ieee_inexact 0
		.amdhsa_exception_int_div_zero 0
	.end_amdhsa_kernel
	.section	.text._ZL27rocblas_geam_inplace_deviceILi16ELi16E19rocblas_complex_numIfEPKS1_PS1_Ev18rocblas_operation_iiT1_S6_T2_lllT3_llli,"axG",@progbits,_ZL27rocblas_geam_inplace_deviceILi16ELi16E19rocblas_complex_numIfEPKS1_PS1_Ev18rocblas_operation_iiT1_S6_T2_lllT3_llli,comdat
.Lfunc_end19:
	.size	_ZL27rocblas_geam_inplace_deviceILi16ELi16E19rocblas_complex_numIfEPKS1_PS1_Ev18rocblas_operation_iiT1_S6_T2_lllT3_llli, .Lfunc_end19-_ZL27rocblas_geam_inplace_deviceILi16ELi16E19rocblas_complex_numIfEPKS1_PS1_Ev18rocblas_operation_iiT1_S6_T2_lllT3_llli
                                        ; -- End function
	.set _ZL27rocblas_geam_inplace_deviceILi16ELi16E19rocblas_complex_numIfEPKS1_PS1_Ev18rocblas_operation_iiT1_S6_T2_lllT3_llli.num_vgpr, 16
	.set _ZL27rocblas_geam_inplace_deviceILi16ELi16E19rocblas_complex_numIfEPKS1_PS1_Ev18rocblas_operation_iiT1_S6_T2_lllT3_llli.num_agpr, 0
	.set _ZL27rocblas_geam_inplace_deviceILi16ELi16E19rocblas_complex_numIfEPKS1_PS1_Ev18rocblas_operation_iiT1_S6_T2_lllT3_llli.numbered_sgpr, 36
	.set _ZL27rocblas_geam_inplace_deviceILi16ELi16E19rocblas_complex_numIfEPKS1_PS1_Ev18rocblas_operation_iiT1_S6_T2_lllT3_llli.num_named_barrier, 0
	.set _ZL27rocblas_geam_inplace_deviceILi16ELi16E19rocblas_complex_numIfEPKS1_PS1_Ev18rocblas_operation_iiT1_S6_T2_lllT3_llli.private_seg_size, 0
	.set _ZL27rocblas_geam_inplace_deviceILi16ELi16E19rocblas_complex_numIfEPKS1_PS1_Ev18rocblas_operation_iiT1_S6_T2_lllT3_llli.uses_vcc, 1
	.set _ZL27rocblas_geam_inplace_deviceILi16ELi16E19rocblas_complex_numIfEPKS1_PS1_Ev18rocblas_operation_iiT1_S6_T2_lllT3_llli.uses_flat_scratch, 0
	.set _ZL27rocblas_geam_inplace_deviceILi16ELi16E19rocblas_complex_numIfEPKS1_PS1_Ev18rocblas_operation_iiT1_S6_T2_lllT3_llli.has_dyn_sized_stack, 0
	.set _ZL27rocblas_geam_inplace_deviceILi16ELi16E19rocblas_complex_numIfEPKS1_PS1_Ev18rocblas_operation_iiT1_S6_T2_lllT3_llli.has_recursion, 0
	.set _ZL27rocblas_geam_inplace_deviceILi16ELi16E19rocblas_complex_numIfEPKS1_PS1_Ev18rocblas_operation_iiT1_S6_T2_lllT3_llli.has_indirect_call, 0
	.section	.AMDGPU.csdata,"",@progbits
; Kernel info:
; codeLenInByte = 932
; TotalNumSgprs: 38
; NumVgprs: 16
; ScratchSize: 0
; MemoryBound: 0
; FloatMode: 240
; IeeeMode: 1
; LDSByteSize: 0 bytes/workgroup (compile time only)
; SGPRBlocks: 0
; VGPRBlocks: 0
; NumSGPRsForWavesPerEU: 38
; NumVGPRsForWavesPerEU: 16
; NamedBarCnt: 0
; Occupancy: 16
; WaveLimiterHint : 0
; COMPUTE_PGM_RSRC2:SCRATCH_EN: 0
; COMPUTE_PGM_RSRC2:USER_SGPR: 2
; COMPUTE_PGM_RSRC2:TRAP_HANDLER: 0
; COMPUTE_PGM_RSRC2:TGID_X_EN: 1
; COMPUTE_PGM_RSRC2:TGID_Y_EN: 0
; COMPUTE_PGM_RSRC2:TGID_Z_EN: 1
; COMPUTE_PGM_RSRC2:TIDIG_COMP_CNT: 1
	.section	.text._ZL27rocblas_geam_inplace_deviceILi16ELi16EPK19rocblas_complex_numIfES3_PS1_Ev18rocblas_operation_iiT1_S6_T2_lllT3_llli,"axG",@progbits,_ZL27rocblas_geam_inplace_deviceILi16ELi16EPK19rocblas_complex_numIfES3_PS1_Ev18rocblas_operation_iiT1_S6_T2_lllT3_llli,comdat
	.globl	_ZL27rocblas_geam_inplace_deviceILi16ELi16EPK19rocblas_complex_numIfES3_PS1_Ev18rocblas_operation_iiT1_S6_T2_lllT3_llli ; -- Begin function _ZL27rocblas_geam_inplace_deviceILi16ELi16EPK19rocblas_complex_numIfES3_PS1_Ev18rocblas_operation_iiT1_S6_T2_lllT3_llli
	.p2align	8
	.type	_ZL27rocblas_geam_inplace_deviceILi16ELi16EPK19rocblas_complex_numIfES3_PS1_Ev18rocblas_operation_iiT1_S6_T2_lllT3_llli,@function
_ZL27rocblas_geam_inplace_deviceILi16ELi16EPK19rocblas_complex_numIfES3_PS1_Ev18rocblas_operation_iiT1_S6_T2_lllT3_llli: ; @_ZL27rocblas_geam_inplace_deviceILi16ELi16EPK19rocblas_complex_numIfES3_PS1_Ev18rocblas_operation_iiT1_S6_T2_lllT3_llli
; %bb.0:
	s_load_b32 s27, s[0:1], 0x60
	s_bfe_u32 s2, ttmp6, 0x40014
	s_lshr_b32 s3, ttmp7, 16
	s_add_co_i32 s2, s2, 1
	s_bfe_u32 s4, ttmp6, 0x40008
	s_mul_i32 s2, s3, s2
	s_getreg_b32 s20, hwreg(HW_REG_IB_STS2, 6, 4)
	s_add_co_i32 s4, s4, s2
	s_cmp_eq_u32 s20, 0
	s_cselect_b32 s2, s3, s4
	s_mov_b32 s3, 0
	s_wait_kmcnt 0x0
	s_cmp_ge_u32 s2, s27
	s_cbranch_scc1 .LBB20_14
; %bb.1:
	s_load_b96 s[24:26], s[0:1], 0x0
	s_bfe_u32 s28, ttmp6, 0x4000c
	s_and_b32 s29, ttmp6, 15
	s_add_co_i32 s28, s28, 1
	v_mov_b32_e32 v10, 0
	s_mul_i32 s28, ttmp9, s28
	s_delay_alu instid0(SALU_CYCLE_1) | instskip(SKIP_2) | instid1(SALU_CYCLE_1)
	s_add_co_i32 s29, s29, s28
	s_wait_kmcnt 0x0
	s_add_co_i32 s4, s25, -1
	s_ashr_i32 s5, s4, 31
	s_delay_alu instid0(SALU_CYCLE_1) | instskip(NEXT) | instid1(SALU_CYCLE_1)
	s_lshr_b32 s5, s5, 28
	s_add_co_i32 s4, s4, s5
	s_delay_alu instid0(SALU_CYCLE_1) | instskip(NEXT) | instid1(SALU_CYCLE_1)
	s_ashr_i32 s21, s4, 4
	s_add_co_i32 s22, s21, 1
	s_not_b32 s21, s21
	s_cvt_f32_u32 s4, s22
	s_delay_alu instid0(SALU_CYCLE_3) | instskip(SKIP_2) | instid1(TRANS32_DEP_1)
	v_rcp_iflag_f32_e32 v1, s4
	s_load_b512 s[4:19], s[0:1], 0x10
	v_nop
	v_readfirstlane_b32 s23, v1
	v_bfe_u32 v1, v0, 10, 10
	v_and_b32_e32 v0, 0x3ff, v0
	s_mul_f32 s23, s23, 0x4f7ffffe
	s_delay_alu instid0(SALU_CYCLE_3) | instskip(NEXT) | instid1(SALU_CYCLE_3)
	s_cvt_u32_f32 s23, s23
	s_mul_i32 s21, s21, s23
	s_wait_kmcnt 0x0
	s_lshl_b64 s[18:19], s[18:19], 3
	s_mul_hi_u32 s21, s23, s21
	s_lshl_b64 s[10:11], s[10:11], 3
	s_add_co_i32 s23, s23, s21
	s_cmp_eq_u32 s20, 0
	s_add_nc_u64 s[8:9], s[8:9], s[10:11]
	s_cselect_b32 s28, ttmp9, s29
	s_delay_alu instid0(SALU_CYCLE_1) | instskip(NEXT) | instid1(SALU_CYCLE_1)
	s_mul_hi_u32 s20, s28, s23
	s_mul_i32 s21, s20, s22
	s_add_co_i32 s23, s20, 1
	s_sub_co_i32 s21, s28, s21
	s_delay_alu instid0(SALU_CYCLE_1)
	s_sub_co_i32 s29, s21, s22
	s_cmp_ge_u32 s21, s22
	s_cselect_b32 s20, s23, s20
	s_cselect_b32 s21, s29, s21
	s_add_co_i32 s23, s20, 1
	s_cmp_ge_u32 s21, s22
	s_cselect_b32 s29, s23, s20
	s_delay_alu instid0(SALU_CYCLE_1)
	s_mul_i32 s30, s29, s22
	s_load_b128 s[20:23], s[0:1], 0x50
	s_wait_xcnt 0x0
	s_sub_co_i32 s0, s28, s30
	v_lshl_add_u32 v2, s29, 4, v1
	v_lshl_add_u32 v4, s0, 4, v0
	s_delay_alu instid0(VALU_DEP_1) | instskip(SKIP_2) | instid1(VALU_DEP_3)
	v_dual_ashrrev_i32 v3, 31, v2 :: v_dual_ashrrev_i32 v5, 31, v4
	v_cmp_gt_i32_e32 vcc_lo, s26, v2
	v_cmp_gt_i32_e64 s0, s25, v4
	v_mad_nc_u64_u32 v[6:7], s12, v4, v[2:3]
	s_delay_alu instid0(VALU_DEP_4)
	v_mad_nc_u64_u32 v[8:9], s12, v2, v[4:5]
	s_and_b32 s1, s0, vcc_lo
	s_cmp_eq_u32 s24, 0x6f
	s_cselect_b32 vcc_lo, -1, 0
	s_cmp_eq_u32 s24, 0x71
	s_wait_kmcnt 0x0
	v_mad_nc_u64_u32 v[0:1], s20, v2, v[4:5]
	s_cselect_b32 s10, -1, 0
	s_delay_alu instid0(VALU_DEP_3) | instskip(NEXT) | instid1(VALU_DEP_3)
	v_mad_u32 v7, s13, v4, v7
	v_mad_u32 v9, s13, v2, v9
	s_delay_alu instid0(VALU_DEP_3) | instskip(SKIP_1) | instid1(VALU_DEP_4)
	v_mad_u32 v1, s21, v2, v1
	v_cndmask_b32_e32 v2, v6, v8, vcc_lo
	v_mad_u32 v5, s12, v5, v7
	s_delay_alu instid0(VALU_DEP_4) | instskip(NEXT) | instid1(VALU_DEP_4)
	v_mad_u32 v7, s12, v3, v9
	v_mad_u32 v1, s20, v3, v1
	s_delay_alu instid0(VALU_DEP_2) | instskip(NEXT) | instid1(VALU_DEP_1)
	v_cndmask_b32_e32 v3, v5, v7, vcc_lo
	v_lshl_add_u64 v[2:3], v[2:3], 3, s[8:9]
	s_add_nc_u64 s[8:9], s[16:17], s[18:19]
	s_branch .LBB20_4
.LBB20_2:                               ;   in Loop: Header=BB20_4 Depth=1
	global_store_b64 v[6:7], v[8:9], off
.LBB20_3:                               ;   in Loop: Header=BB20_4 Depth=1
	s_wait_xcnt 0x0
	s_or_b32 exec_lo, exec_lo, s11
	s_add_co_i32 s2, s2, 0x10000
	s_delay_alu instid0(SALU_CYCLE_1)
	s_cmp_lt_u32 s2, s27
	s_cbranch_scc0 .LBB20_14
.LBB20_4:                               ; =>This Inner Loop Header: Depth=1
	s_and_saveexec_b32 s11, s1
	s_cbranch_execz .LBB20_3
; %bb.5:                                ;   in Loop: Header=BB20_4 Depth=1
	global_load_b64 v[8:9], v10, s[6:7]
	s_wait_loadcnt 0x1
	global_load_b64 v[4:5], v10, s[4:5]
	s_mul_u64 s[12:13], s[22:23], s[2:3]
	s_mov_b32 s0, -1
	s_lshl_b64 s[12:13], s[12:13], 3
	s_delay_alu instid0(SALU_CYCLE_1) | instskip(SKIP_2) | instid1(VALU_DEP_1)
	s_add_nc_u64 s[12:13], s[8:9], s[12:13]
	s_wait_loadcnt 0x1
	v_or_b32_e32 v6, v8, v9
	v_and_b32_e32 v6, 0x7fffffff, v6
	s_delay_alu instid0(VALU_DEP_1)
	v_cmp_ne_u32_e32 vcc_lo, 0, v6
	v_lshl_add_u64 v[6:7], v[0:1], 3, s[12:13]
	s_cbranch_vccz .LBB20_11
; %bb.6:                                ;   in Loop: Header=BB20_4 Depth=1
	s_mul_u64 s[12:13], s[14:15], s[2:3]
	s_wait_loadcnt 0x0
	v_cmp_eq_f32_e32 vcc_lo, 0, v4
	v_lshl_add_u64 v[12:13], s[12:13], 3, v[2:3]
	v_cmp_eq_f32_e64 s0, 0, v5
	global_load_b64 v[12:13], v[12:13], off
	s_and_b32 s0, vcc_lo, s0
	s_delay_alu instid0(SALU_CYCLE_1) | instskip(SKIP_3) | instid1(VALU_DEP_1)
	s_and_not1_b32 vcc_lo, exec_lo, s0
	s_mov_b32 s0, -1
	s_wait_loadcnt 0x0
	v_cndmask_b32_e64 v14, v13, -v13, s10
	v_pk_mul_f32 v[14:15], v[14:15], v[8:9] op_sel:[0,1] op_sel_hi:[0,0]
	s_delay_alu instid0(VALU_DEP_1) | instskip(SKIP_1) | instid1(VALU_DEP_2)
	v_pk_fma_f32 v[16:17], v[12:13], v[8:9], v[14:15] op_sel_hi:[0,1,1]
	v_pk_fma_f32 v[8:9], v[12:13], v[8:9], v[14:15] neg_lo:[0,0,1] neg_hi:[0,0,1]
	v_mov_b32_e32 v9, v17
	s_cbranch_vccz .LBB20_8
; %bb.7:                                ;   in Loop: Header=BB20_4 Depth=1
	global_load_b64 v[12:13], v[6:7], off
	s_mov_b32 s0, 0
	s_wait_loadcnt 0x0
	v_pk_mul_f32 v[14:15], v[12:13], v[4:5] op_sel:[1,1] op_sel_hi:[1,0]
	s_delay_alu instid0(VALU_DEP_1) | instskip(SKIP_1) | instid1(VALU_DEP_2)
	v_pk_fma_f32 v[16:17], v[12:13], v[4:5], v[14:15] op_sel_hi:[0,1,1]
	v_pk_fma_f32 v[12:13], v[12:13], v[4:5], v[14:15] neg_lo:[0,0,1] neg_hi:[0,0,1]
	v_mov_b32_e32 v13, v17
	s_delay_alu instid0(VALU_DEP_1)
	v_pk_add_f32 v[12:13], v[8:9], v[12:13]
	global_store_b64 v[6:7], v[12:13], off
.LBB20_8:                               ;   in Loop: Header=BB20_4 Depth=1
	s_and_not1_b32 vcc_lo, exec_lo, s0
	s_cbranch_vccnz .LBB20_10
; %bb.9:                                ;   in Loop: Header=BB20_4 Depth=1
	global_store_b64 v[6:7], v[8:9], off
.LBB20_10:                              ;   in Loop: Header=BB20_4 Depth=1
	s_mov_b32 s0, 0
.LBB20_11:                              ;   in Loop: Header=BB20_4 Depth=1
	s_delay_alu instid0(SALU_CYCLE_1)
	s_and_not1_b32 vcc_lo, exec_lo, s0
	s_cbranch_vccnz .LBB20_3
; %bb.12:                               ;   in Loop: Header=BB20_4 Depth=1
	s_wait_loadcnt 0x0
	v_cmp_neq_f32_e32 vcc_lo, 0, v4
	v_cmp_neq_f32_e64 s0, 0, v5
	s_wait_xcnt 0x0
	v_dual_mov_b32 v8, 0 :: v_dual_mov_b32 v9, 0
	s_or_b32 s0, vcc_lo, s0
	s_delay_alu instid0(SALU_CYCLE_1)
	s_and_not1_b32 vcc_lo, exec_lo, s0
	s_cbranch_vccnz .LBB20_2
; %bb.13:                               ;   in Loop: Header=BB20_4 Depth=1
	global_load_b64 v[8:9], v[6:7], off
	s_wait_loadcnt 0x0
	v_pk_mul_f32 v[12:13], v[8:9], v[4:5] op_sel:[1,1] op_sel_hi:[1,0]
	s_delay_alu instid0(VALU_DEP_1) | instskip(SKIP_1) | instid1(VALU_DEP_2)
	v_pk_fma_f32 v[14:15], v[8:9], v[4:5], v[12:13] op_sel_hi:[0,1,1]
	v_pk_fma_f32 v[8:9], v[8:9], v[4:5], v[12:13] neg_lo:[0,0,1] neg_hi:[0,0,1]
	v_mov_b32_e32 v9, v15
	s_branch .LBB20_2
.LBB20_14:
	s_endpgm
	.section	.rodata,"a",@progbits
	.p2align	6, 0x0
	.amdhsa_kernel _ZL27rocblas_geam_inplace_deviceILi16ELi16EPK19rocblas_complex_numIfES3_PS1_Ev18rocblas_operation_iiT1_S6_T2_lllT3_llli
		.amdhsa_group_segment_fixed_size 0
		.amdhsa_private_segment_fixed_size 0
		.amdhsa_kernarg_size 100
		.amdhsa_user_sgpr_count 2
		.amdhsa_user_sgpr_dispatch_ptr 0
		.amdhsa_user_sgpr_queue_ptr 0
		.amdhsa_user_sgpr_kernarg_segment_ptr 1
		.amdhsa_user_sgpr_dispatch_id 0
		.amdhsa_user_sgpr_kernarg_preload_length 0
		.amdhsa_user_sgpr_kernarg_preload_offset 0
		.amdhsa_user_sgpr_private_segment_size 0
		.amdhsa_wavefront_size32 1
		.amdhsa_uses_dynamic_stack 0
		.amdhsa_enable_private_segment 0
		.amdhsa_system_sgpr_workgroup_id_x 1
		.amdhsa_system_sgpr_workgroup_id_y 0
		.amdhsa_system_sgpr_workgroup_id_z 1
		.amdhsa_system_sgpr_workgroup_info 0
		.amdhsa_system_vgpr_workitem_id 1
		.amdhsa_next_free_vgpr 18
		.amdhsa_next_free_sgpr 31
		.amdhsa_named_barrier_count 0
		.amdhsa_reserve_vcc 1
		.amdhsa_float_round_mode_32 0
		.amdhsa_float_round_mode_16_64 0
		.amdhsa_float_denorm_mode_32 3
		.amdhsa_float_denorm_mode_16_64 3
		.amdhsa_fp16_overflow 0
		.amdhsa_memory_ordered 1
		.amdhsa_forward_progress 1
		.amdhsa_inst_pref_size 8
		.amdhsa_round_robin_scheduling 0
		.amdhsa_exception_fp_ieee_invalid_op 0
		.amdhsa_exception_fp_denorm_src 0
		.amdhsa_exception_fp_ieee_div_zero 0
		.amdhsa_exception_fp_ieee_overflow 0
		.amdhsa_exception_fp_ieee_underflow 0
		.amdhsa_exception_fp_ieee_inexact 0
		.amdhsa_exception_int_div_zero 0
	.end_amdhsa_kernel
	.section	.text._ZL27rocblas_geam_inplace_deviceILi16ELi16EPK19rocblas_complex_numIfES3_PS1_Ev18rocblas_operation_iiT1_S6_T2_lllT3_llli,"axG",@progbits,_ZL27rocblas_geam_inplace_deviceILi16ELi16EPK19rocblas_complex_numIfES3_PS1_Ev18rocblas_operation_iiT1_S6_T2_lllT3_llli,comdat
.Lfunc_end20:
	.size	_ZL27rocblas_geam_inplace_deviceILi16ELi16EPK19rocblas_complex_numIfES3_PS1_Ev18rocblas_operation_iiT1_S6_T2_lllT3_llli, .Lfunc_end20-_ZL27rocblas_geam_inplace_deviceILi16ELi16EPK19rocblas_complex_numIfES3_PS1_Ev18rocblas_operation_iiT1_S6_T2_lllT3_llli
                                        ; -- End function
	.set _ZL27rocblas_geam_inplace_deviceILi16ELi16EPK19rocblas_complex_numIfES3_PS1_Ev18rocblas_operation_iiT1_S6_T2_lllT3_llli.num_vgpr, 18
	.set _ZL27rocblas_geam_inplace_deviceILi16ELi16EPK19rocblas_complex_numIfES3_PS1_Ev18rocblas_operation_iiT1_S6_T2_lllT3_llli.num_agpr, 0
	.set _ZL27rocblas_geam_inplace_deviceILi16ELi16EPK19rocblas_complex_numIfES3_PS1_Ev18rocblas_operation_iiT1_S6_T2_lllT3_llli.numbered_sgpr, 31
	.set _ZL27rocblas_geam_inplace_deviceILi16ELi16EPK19rocblas_complex_numIfES3_PS1_Ev18rocblas_operation_iiT1_S6_T2_lllT3_llli.num_named_barrier, 0
	.set _ZL27rocblas_geam_inplace_deviceILi16ELi16EPK19rocblas_complex_numIfES3_PS1_Ev18rocblas_operation_iiT1_S6_T2_lllT3_llli.private_seg_size, 0
	.set _ZL27rocblas_geam_inplace_deviceILi16ELi16EPK19rocblas_complex_numIfES3_PS1_Ev18rocblas_operation_iiT1_S6_T2_lllT3_llli.uses_vcc, 1
	.set _ZL27rocblas_geam_inplace_deviceILi16ELi16EPK19rocblas_complex_numIfES3_PS1_Ev18rocblas_operation_iiT1_S6_T2_lllT3_llli.uses_flat_scratch, 0
	.set _ZL27rocblas_geam_inplace_deviceILi16ELi16EPK19rocblas_complex_numIfES3_PS1_Ev18rocblas_operation_iiT1_S6_T2_lllT3_llli.has_dyn_sized_stack, 0
	.set _ZL27rocblas_geam_inplace_deviceILi16ELi16EPK19rocblas_complex_numIfES3_PS1_Ev18rocblas_operation_iiT1_S6_T2_lllT3_llli.has_recursion, 0
	.set _ZL27rocblas_geam_inplace_deviceILi16ELi16EPK19rocblas_complex_numIfES3_PS1_Ev18rocblas_operation_iiT1_S6_T2_lllT3_llli.has_indirect_call, 0
	.section	.AMDGPU.csdata,"",@progbits
; Kernel info:
; codeLenInByte = 960
; TotalNumSgprs: 33
; NumVgprs: 18
; ScratchSize: 0
; MemoryBound: 0
; FloatMode: 240
; IeeeMode: 1
; LDSByteSize: 0 bytes/workgroup (compile time only)
; SGPRBlocks: 0
; VGPRBlocks: 1
; NumSGPRsForWavesPerEU: 33
; NumVGPRsForWavesPerEU: 18
; NamedBarCnt: 0
; Occupancy: 16
; WaveLimiterHint : 0
; COMPUTE_PGM_RSRC2:SCRATCH_EN: 0
; COMPUTE_PGM_RSRC2:USER_SGPR: 2
; COMPUTE_PGM_RSRC2:TRAP_HANDLER: 0
; COMPUTE_PGM_RSRC2:TGID_X_EN: 1
; COMPUTE_PGM_RSRC2:TGID_Y_EN: 0
; COMPUTE_PGM_RSRC2:TGID_Z_EN: 1
; COMPUTE_PGM_RSRC2:TIDIG_COMP_CNT: 1
	.section	.text._ZL30rocblas_geam_1D_2matrix_deviceILi256E19rocblas_complex_numIfEPKS1_PS1_EvmT0_T1_llT2_lli,"axG",@progbits,_ZL30rocblas_geam_1D_2matrix_deviceILi256E19rocblas_complex_numIfEPKS1_PS1_EvmT0_T1_llT2_lli,comdat
	.globl	_ZL30rocblas_geam_1D_2matrix_deviceILi256E19rocblas_complex_numIfEPKS1_PS1_EvmT0_T1_llT2_lli ; -- Begin function _ZL30rocblas_geam_1D_2matrix_deviceILi256E19rocblas_complex_numIfEPKS1_PS1_EvmT0_T1_llT2_lli
	.p2align	8
	.type	_ZL30rocblas_geam_1D_2matrix_deviceILi256E19rocblas_complex_numIfEPKS1_PS1_EvmT0_T1_llT2_lli,@function
_ZL30rocblas_geam_1D_2matrix_deviceILi256E19rocblas_complex_numIfEPKS1_PS1_EvmT0_T1_llT2_lli: ; @_ZL30rocblas_geam_1D_2matrix_deviceILi256E19rocblas_complex_numIfEPKS1_PS1_EvmT0_T1_llT2_lli
; %bb.0:
	s_load_b32 s20, s[0:1], 0x40
	s_bfe_u32 s2, ttmp6, 0x40014
	s_lshr_b32 s3, ttmp7, 16
	s_add_co_i32 s2, s2, 1
	s_bfe_u32 s4, ttmp6, 0x40008
	s_mul_i32 s2, s3, s2
	s_getreg_b32 s21, hwreg(HW_REG_IB_STS2, 6, 4)
	s_add_co_i32 s4, s4, s2
	s_cmp_eq_u32 s21, 0
	s_cselect_b32 s2, s3, s4
	s_mov_b32 s3, 0
	s_wait_kmcnt 0x0
	s_cmp_ge_u32 s2, s20
	s_cbranch_scc1 .LBB21_8
; %bb.1:
	s_clause 0x3
	s_load_b32 s22, s[0:1], 0x54
	s_load_b128 s[12:15], s[0:1], 0x30
	s_load_b256 s[4:11], s[0:1], 0x10
	s_load_b128 s[16:19], s[0:1], 0x0
	s_wait_xcnt 0x0
	s_bfe_u32 s0, ttmp6, 0x4000c
	s_and_b32 s1, ttmp6, 15
	s_add_co_i32 s0, s0, 1
	v_mov_b32_e32 v1, 0
	s_mul_i32 s0, ttmp9, s0
	v_mov_b64_e32 v[2:3], 0
	s_add_co_i32 s1, s1, s0
	s_wait_kmcnt 0x0
	s_and_b32 s0, s22, 0xffff
	s_cmp_eq_u32 s21, 0
	s_cselect_b32 s1, ttmp9, s1
	s_or_b32 s21, s18, s19
	v_mad_nc_u64_u32 v[0:1], s0, s1, v[0:1]
	s_lshl_b64 s[0:1], s[12:13], 3
	s_lshl_b64 s[12:13], s[6:7], 3
	s_add_nc_u64 s[6:7], s[10:11], s[0:1]
	s_add_nc_u64 s[4:5], s[4:5], s[12:13]
	s_bitset0_b32 s21, 31
	s_delay_alu instid0(SALU_CYCLE_1) | instskip(SKIP_1) | instid1(VALU_DEP_1)
	s_cmp_lg_u32 s21, 0
	s_cselect_b32 s1, -1, 0
	v_cmp_gt_u64_e64 s0, s[16:17], v[0:1]
	v_lshl_add_u64 v[4:5], v[0:1], 3, s[4:5]
	s_mov_b32 s4, s18
	s_mov_b32 s5, s18
	;; [unrolled: 1-line block ×3, first 2 shown]
	s_branch .LBB21_3
.LBB21_2:                               ;   in Loop: Header=BB21_3 Depth=1
	s_wait_xcnt 0x0
	s_or_b32 exec_lo, exec_lo, s10
	s_add_co_i32 s2, s2, 0x10000
	s_delay_alu instid0(SALU_CYCLE_1)
	s_cmp_lt_u32 s2, s20
	s_cbranch_scc0 .LBB21_8
.LBB21_3:                               ; =>This Inner Loop Header: Depth=1
	s_and_saveexec_b32 s10, s0
	s_cbranch_execz .LBB21_2
; %bb.4:                                ;   in Loop: Header=BB21_3 Depth=1
	s_mul_u64 s[12:13], s[14:15], s[2:3]
	s_and_b32 vcc_lo, exec_lo, s1
	s_lshl_b64 s[12:13], s[12:13], 3
	s_mov_b32 s11, -1
	s_add_nc_u64 s[12:13], s[6:7], s[12:13]
	s_delay_alu instid0(SALU_CYCLE_1)
	v_lshl_add_u64 v[6:7], v[0:1], 3, s[12:13]
	s_cbranch_vccz .LBB21_6
; %bb.5:                                ;   in Loop: Header=BB21_3 Depth=1
	s_mul_u64 s[12:13], s[8:9], s[2:3]
	v_mov_b64_e32 v[10:11], s[18:19]
	v_lshl_add_u64 v[8:9], s[12:13], 3, v[4:5]
	v_mov_b64_e32 v[12:13], s[4:5]
	s_mov_b32 s11, 0
	global_load_b64 v[8:9], v[8:9], off
	s_wait_loadcnt 0x0
	v_pk_mul_f32 v[10:11], v[8:9], v[10:11] op_sel:[1,0] op_sel_hi:[0,1]
	s_delay_alu instid0(VALU_DEP_1) | instskip(SKIP_2) | instid1(VALU_DEP_2)
	v_pk_fma_f32 v[14:15], v[8:9], v[12:13], v[10:11]
	s_wait_xcnt 0x0
	v_pk_fma_f32 v[8:9], v[8:9], v[12:13], v[10:11] neg_lo:[0,0,1] neg_hi:[0,0,1]
	v_mov_b32_e32 v9, v15
	global_store_b64 v[6:7], v[8:9], off
.LBB21_6:                               ;   in Loop: Header=BB21_3 Depth=1
	s_and_not1_b32 vcc_lo, exec_lo, s11
	s_cbranch_vccnz .LBB21_2
; %bb.7:                                ;   in Loop: Header=BB21_3 Depth=1
	global_store_b64 v[6:7], v[2:3], off
	s_branch .LBB21_2
.LBB21_8:
	s_endpgm
	.section	.rodata,"a",@progbits
	.p2align	6, 0x0
	.amdhsa_kernel _ZL30rocblas_geam_1D_2matrix_deviceILi256E19rocblas_complex_numIfEPKS1_PS1_EvmT0_T1_llT2_lli
		.amdhsa_group_segment_fixed_size 0
		.amdhsa_private_segment_fixed_size 0
		.amdhsa_kernarg_size 328
		.amdhsa_user_sgpr_count 2
		.amdhsa_user_sgpr_dispatch_ptr 0
		.amdhsa_user_sgpr_queue_ptr 0
		.amdhsa_user_sgpr_kernarg_segment_ptr 1
		.amdhsa_user_sgpr_dispatch_id 0
		.amdhsa_user_sgpr_kernarg_preload_length 0
		.amdhsa_user_sgpr_kernarg_preload_offset 0
		.amdhsa_user_sgpr_private_segment_size 0
		.amdhsa_wavefront_size32 1
		.amdhsa_uses_dynamic_stack 0
		.amdhsa_enable_private_segment 0
		.amdhsa_system_sgpr_workgroup_id_x 1
		.amdhsa_system_sgpr_workgroup_id_y 0
		.amdhsa_system_sgpr_workgroup_id_z 1
		.amdhsa_system_sgpr_workgroup_info 0
		.amdhsa_system_vgpr_workitem_id 0
		.amdhsa_next_free_vgpr 16
		.amdhsa_next_free_sgpr 23
		.amdhsa_named_barrier_count 0
		.amdhsa_reserve_vcc 1
		.amdhsa_float_round_mode_32 0
		.amdhsa_float_round_mode_16_64 0
		.amdhsa_float_denorm_mode_32 3
		.amdhsa_float_denorm_mode_16_64 3
		.amdhsa_fp16_overflow 0
		.amdhsa_memory_ordered 1
		.amdhsa_forward_progress 1
		.amdhsa_inst_pref_size 4
		.amdhsa_round_robin_scheduling 0
		.amdhsa_exception_fp_ieee_invalid_op 0
		.amdhsa_exception_fp_denorm_src 0
		.amdhsa_exception_fp_ieee_div_zero 0
		.amdhsa_exception_fp_ieee_overflow 0
		.amdhsa_exception_fp_ieee_underflow 0
		.amdhsa_exception_fp_ieee_inexact 0
		.amdhsa_exception_int_div_zero 0
	.end_amdhsa_kernel
	.section	.text._ZL30rocblas_geam_1D_2matrix_deviceILi256E19rocblas_complex_numIfEPKS1_PS1_EvmT0_T1_llT2_lli,"axG",@progbits,_ZL30rocblas_geam_1D_2matrix_deviceILi256E19rocblas_complex_numIfEPKS1_PS1_EvmT0_T1_llT2_lli,comdat
.Lfunc_end21:
	.size	_ZL30rocblas_geam_1D_2matrix_deviceILi256E19rocblas_complex_numIfEPKS1_PS1_EvmT0_T1_llT2_lli, .Lfunc_end21-_ZL30rocblas_geam_1D_2matrix_deviceILi256E19rocblas_complex_numIfEPKS1_PS1_EvmT0_T1_llT2_lli
                                        ; -- End function
	.set _ZL30rocblas_geam_1D_2matrix_deviceILi256E19rocblas_complex_numIfEPKS1_PS1_EvmT0_T1_llT2_lli.num_vgpr, 16
	.set _ZL30rocblas_geam_1D_2matrix_deviceILi256E19rocblas_complex_numIfEPKS1_PS1_EvmT0_T1_llT2_lli.num_agpr, 0
	.set _ZL30rocblas_geam_1D_2matrix_deviceILi256E19rocblas_complex_numIfEPKS1_PS1_EvmT0_T1_llT2_lli.numbered_sgpr, 23
	.set _ZL30rocblas_geam_1D_2matrix_deviceILi256E19rocblas_complex_numIfEPKS1_PS1_EvmT0_T1_llT2_lli.num_named_barrier, 0
	.set _ZL30rocblas_geam_1D_2matrix_deviceILi256E19rocblas_complex_numIfEPKS1_PS1_EvmT0_T1_llT2_lli.private_seg_size, 0
	.set _ZL30rocblas_geam_1D_2matrix_deviceILi256E19rocblas_complex_numIfEPKS1_PS1_EvmT0_T1_llT2_lli.uses_vcc, 1
	.set _ZL30rocblas_geam_1D_2matrix_deviceILi256E19rocblas_complex_numIfEPKS1_PS1_EvmT0_T1_llT2_lli.uses_flat_scratch, 0
	.set _ZL30rocblas_geam_1D_2matrix_deviceILi256E19rocblas_complex_numIfEPKS1_PS1_EvmT0_T1_llT2_lli.has_dyn_sized_stack, 0
	.set _ZL30rocblas_geam_1D_2matrix_deviceILi256E19rocblas_complex_numIfEPKS1_PS1_EvmT0_T1_llT2_lli.has_recursion, 0
	.set _ZL30rocblas_geam_1D_2matrix_deviceILi256E19rocblas_complex_numIfEPKS1_PS1_EvmT0_T1_llT2_lli.has_indirect_call, 0
	.section	.AMDGPU.csdata,"",@progbits
; Kernel info:
; codeLenInByte = 424
; TotalNumSgprs: 25
; NumVgprs: 16
; ScratchSize: 0
; MemoryBound: 0
; FloatMode: 240
; IeeeMode: 1
; LDSByteSize: 0 bytes/workgroup (compile time only)
; SGPRBlocks: 0
; VGPRBlocks: 0
; NumSGPRsForWavesPerEU: 25
; NumVGPRsForWavesPerEU: 16
; NamedBarCnt: 0
; Occupancy: 16
; WaveLimiterHint : 0
; COMPUTE_PGM_RSRC2:SCRATCH_EN: 0
; COMPUTE_PGM_RSRC2:USER_SGPR: 2
; COMPUTE_PGM_RSRC2:TRAP_HANDLER: 0
; COMPUTE_PGM_RSRC2:TGID_X_EN: 1
; COMPUTE_PGM_RSRC2:TGID_Y_EN: 0
; COMPUTE_PGM_RSRC2:TGID_Z_EN: 1
; COMPUTE_PGM_RSRC2:TIDIG_COMP_CNT: 0
	.section	.text._ZL27rocblas_geam_2matrix_deviceILi16ELi16E19rocblas_complex_numIfEPKS1_PS1_Ev18rocblas_operation_iiT1_T2_lllT3_llli,"axG",@progbits,_ZL27rocblas_geam_2matrix_deviceILi16ELi16E19rocblas_complex_numIfEPKS1_PS1_Ev18rocblas_operation_iiT1_T2_lllT3_llli,comdat
	.globl	_ZL27rocblas_geam_2matrix_deviceILi16ELi16E19rocblas_complex_numIfEPKS1_PS1_Ev18rocblas_operation_iiT1_T2_lllT3_llli ; -- Begin function _ZL27rocblas_geam_2matrix_deviceILi16ELi16E19rocblas_complex_numIfEPKS1_PS1_Ev18rocblas_operation_iiT1_T2_lllT3_llli
	.p2align	8
	.type	_ZL27rocblas_geam_2matrix_deviceILi16ELi16E19rocblas_complex_numIfEPKS1_PS1_Ev18rocblas_operation_iiT1_T2_lllT3_llli,@function
_ZL27rocblas_geam_2matrix_deviceILi16ELi16E19rocblas_complex_numIfEPKS1_PS1_Ev18rocblas_operation_iiT1_T2_lllT3_llli: ; @_ZL27rocblas_geam_2matrix_deviceILi16ELi16E19rocblas_complex_numIfEPKS1_PS1_Ev18rocblas_operation_iiT1_T2_lllT3_llli
; %bb.0:
	s_load_b32 s23, s[0:1], 0x58
	s_bfe_u32 s2, ttmp6, 0x40014
	s_lshr_b32 s3, ttmp7, 16
	s_add_co_i32 s2, s2, 1
	s_bfe_u32 s4, ttmp6, 0x40008
	s_mul_i32 s2, s3, s2
	s_getreg_b32 s26, hwreg(HW_REG_IB_STS2, 6, 4)
	s_add_co_i32 s4, s4, s2
	s_cmp_eq_u32 s26, 0
	s_cselect_b32 s2, s3, s4
	s_mov_b32 s3, 0
	s_wait_kmcnt 0x0
	s_cmp_ge_u32 s2, s23
	s_cbranch_scc1 .LBB22_8
; %bb.1:
	s_clause 0x1
	s_load_b96 s[20:22], s[0:1], 0x0
	s_load_b64 s[24:25], s[0:1], 0xc
	s_and_b32 s28, ttmp6, 15
	s_wait_kmcnt 0x0
	s_add_co_i32 s4, s21, -1
	s_delay_alu instid0(SALU_CYCLE_1) | instskip(NEXT) | instid1(SALU_CYCLE_1)
	s_ashr_i32 s5, s4, 31
	s_lshr_b32 s5, s5, 28
	s_delay_alu instid0(SALU_CYCLE_1) | instskip(NEXT) | instid1(SALU_CYCLE_1)
	s_add_co_i32 s4, s4, s5
	s_ashr_i32 s27, s4, 4
	s_delay_alu instid0(SALU_CYCLE_1) | instskip(SKIP_2) | instid1(SALU_CYCLE_3)
	s_add_co_i32 s30, s27, 1
	s_not_b32 s27, s27
	s_cvt_f32_u32 s4, s30
	v_rcp_iflag_f32_e32 v1, s4
	s_load_b512 s[4:19], s[0:1], 0x18
	s_wait_xcnt 0x0
	s_bfe_u32 s1, ttmp6, 0x4000c
	s_delay_alu instid0(SALU_CYCLE_1) | instskip(NEXT) | instid1(SALU_CYCLE_1)
	s_add_co_i32 s1, s1, 1
	s_mul_i32 s1, ttmp9, s1
	v_nop
	v_readfirstlane_b32 s0, v1
	s_add_co_i32 s1, s28, s1
	v_bfe_u32 v1, v0, 10, 10
	v_and_b32_e32 v0, 0x3ff, v0
	s_mul_f32 s0, s0, 0x4f7ffffe
	s_delay_alu instid0(SALU_CYCLE_3) | instskip(NEXT) | instid1(SALU_CYCLE_3)
	s_cvt_u32_f32 s0, s0
	s_mul_i32 s27, s27, s0
	s_wait_kmcnt 0x0
	s_lshl_b64 s[14:15], s[14:15], 3
	s_mul_hi_u32 s27, s0, s27
	s_lshl_b64 s[28:29], s[6:7], 3
	s_add_co_i32 s0, s0, s27
	s_cmp_eq_u32 s26, 0
	s_add_nc_u64 s[4:5], s[4:5], s[28:29]
	s_cselect_b32 s1, ttmp9, s1
	s_delay_alu instid0(SALU_CYCLE_1) | instskip(NEXT) | instid1(SALU_CYCLE_1)
	s_mul_hi_u32 s0, s1, s0
	s_mul_i32 s6, s0, s30
	s_add_co_i32 s7, s0, 1
	s_sub_co_i32 s6, s1, s6
	s_delay_alu instid0(SALU_CYCLE_1)
	s_sub_co_i32 s26, s6, s30
	s_cmp_ge_u32 s6, s30
	s_cselect_b32 s0, s7, s0
	s_cselect_b32 s6, s26, s6
	s_add_co_i32 s7, s0, 1
	s_cmp_ge_u32 s6, s30
	s_cselect_b32 s0, s7, s0
	s_delay_alu instid0(SALU_CYCLE_1) | instskip(SKIP_2) | instid1(SALU_CYCLE_1)
	s_mul_i32 s6, s0, s30
	v_lshl_add_u32 v2, s0, 4, v1
	s_sub_co_i32 s1, s1, s6
	v_lshl_add_u32 v4, s1, 4, v0
	s_or_b32 s1, s24, s25
	s_delay_alu instid0(VALU_DEP_2)
	v_ashrrev_i32_e32 v3, 31, v2
	v_cmp_gt_i32_e32 vcc_lo, s22, v2
	s_bitset0_b32 s1, 31
	v_ashrrev_i32_e32 v5, 31, v4
	v_cmp_gt_i32_e64 s0, s21, v4
	v_mad_nc_u64_u32 v[6:7], s8, v4, v[2:3]
	s_delay_alu instid0(VALU_DEP_3)
	v_mad_nc_u64_u32 v[8:9], s8, v2, v[4:5]
	v_mad_nc_u64_u32 v[0:1], s16, v2, v[4:5]
	s_and_b32 s6, s0, vcc_lo
	s_cmp_lg_u32 s1, 0
	s_add_nc_u64 s[0:1], s[12:13], s[14:15]
	s_cselect_b32 s7, -1, 0
	s_cmp_eq_u32 s20, 0x6f
	s_delay_alu instid0(VALU_DEP_3) | instskip(SKIP_2) | instid1(VALU_DEP_3)
	v_mad_u32 v7, s9, v4, v7
	s_cselect_b32 vcc_lo, -1, 0
	s_cmp_eq_u32 s20, 0x71
	v_mad_u32 v9, s9, v2, v9
	s_delay_alu instid0(VALU_DEP_3) | instskip(NEXT) | instid1(VALU_DEP_3)
	v_mad_u32 v1, s17, v2, v1
	v_mad_u32 v2, s8, v5, v7
	s_delay_alu instid0(VALU_DEP_3) | instskip(NEXT) | instid1(VALU_DEP_3)
	v_mad_u32 v4, s8, v3, v9
	v_mad_u32 v1, s16, v3, v1
	s_cselect_b32 s8, -1, 0
	s_delay_alu instid0(VALU_DEP_2) | instskip(SKIP_2) | instid1(VALU_DEP_2)
	v_cndmask_b32_e32 v5, v2, v4, vcc_lo
	v_cndmask_b32_e32 v4, v6, v8, vcc_lo
	v_mov_b64_e32 v[2:3], 0
	v_lshl_add_u64 v[4:5], v[4:5], 3, s[4:5]
	s_mov_b32 s4, s25
	s_mov_b32 s5, s24
	s_branch .LBB22_3
.LBB22_2:                               ;   in Loop: Header=BB22_3 Depth=1
	s_wait_xcnt 0x0
	s_or_b32 exec_lo, exec_lo, s9
	s_add_co_i32 s2, s2, 0x10000
	s_delay_alu instid0(SALU_CYCLE_1)
	s_cmp_lt_u32 s2, s23
	s_cbranch_scc0 .LBB22_8
.LBB22_3:                               ; =>This Inner Loop Header: Depth=1
	s_and_saveexec_b32 s9, s6
	s_cbranch_execz .LBB22_2
; %bb.4:                                ;   in Loop: Header=BB22_3 Depth=1
	s_mul_u64 s[12:13], s[18:19], s[2:3]
	s_and_b32 vcc_lo, exec_lo, s7
	s_lshl_b64 s[12:13], s[12:13], 3
	s_delay_alu instid0(SALU_CYCLE_1) | instskip(NEXT) | instid1(SALU_CYCLE_1)
	s_add_nc_u64 s[12:13], s[0:1], s[12:13]
	v_lshl_add_u64 v[6:7], v[0:1], 3, s[12:13]
	s_mov_b32 s12, -1
	s_cbranch_vccz .LBB22_6
; %bb.5:                                ;   in Loop: Header=BB22_3 Depth=1
	s_mul_u64 s[12:13], s[10:11], s[2:3]
	v_mov_b64_e32 v[10:11], s[4:5]
	v_lshl_add_u64 v[8:9], s[12:13], 3, v[4:5]
	s_mov_b32 s12, 0
	global_load_b64 v[8:9], v[8:9], off
	s_wait_loadcnt 0x0
	v_cndmask_b32_e64 v12, v9, -v9, s8
	s_delay_alu instid0(VALU_DEP_1) | instskip(SKIP_1) | instid1(VALU_DEP_1)
	v_pk_mul_f32 v[10:11], v[12:13], v[10:11] op_sel_hi:[0,1]
	v_mov_b64_e32 v[12:13], s[24:25]
	v_pk_fma_f32 v[14:15], v[8:9], v[12:13], v[10:11] op_sel_hi:[0,1,1]
	s_wait_xcnt 0x0
	v_pk_fma_f32 v[8:9], v[8:9], v[12:13], v[10:11] neg_lo:[0,0,1] neg_hi:[0,0,1]
	s_delay_alu instid0(VALU_DEP_2)
	v_mov_b32_e32 v9, v15
	global_store_b64 v[6:7], v[8:9], off
.LBB22_6:                               ;   in Loop: Header=BB22_3 Depth=1
	s_and_not1_b32 vcc_lo, exec_lo, s12
	s_cbranch_vccnz .LBB22_2
; %bb.7:                                ;   in Loop: Header=BB22_3 Depth=1
	global_store_b64 v[6:7], v[2:3], off
	s_branch .LBB22_2
.LBB22_8:
	s_endpgm
	.section	.rodata,"a",@progbits
	.p2align	6, 0x0
	.amdhsa_kernel _ZL27rocblas_geam_2matrix_deviceILi16ELi16E19rocblas_complex_numIfEPKS1_PS1_Ev18rocblas_operation_iiT1_T2_lllT3_llli
		.amdhsa_group_segment_fixed_size 0
		.amdhsa_private_segment_fixed_size 0
		.amdhsa_kernarg_size 92
		.amdhsa_user_sgpr_count 2
		.amdhsa_user_sgpr_dispatch_ptr 0
		.amdhsa_user_sgpr_queue_ptr 0
		.amdhsa_user_sgpr_kernarg_segment_ptr 1
		.amdhsa_user_sgpr_dispatch_id 0
		.amdhsa_user_sgpr_kernarg_preload_length 0
		.amdhsa_user_sgpr_kernarg_preload_offset 0
		.amdhsa_user_sgpr_private_segment_size 0
		.amdhsa_wavefront_size32 1
		.amdhsa_uses_dynamic_stack 0
		.amdhsa_enable_private_segment 0
		.amdhsa_system_sgpr_workgroup_id_x 1
		.amdhsa_system_sgpr_workgroup_id_y 0
		.amdhsa_system_sgpr_workgroup_id_z 1
		.amdhsa_system_sgpr_workgroup_info 0
		.amdhsa_system_vgpr_workitem_id 1
		.amdhsa_next_free_vgpr 16
		.amdhsa_next_free_sgpr 31
		.amdhsa_named_barrier_count 0
		.amdhsa_reserve_vcc 1
		.amdhsa_float_round_mode_32 0
		.amdhsa_float_round_mode_16_64 0
		.amdhsa_float_denorm_mode_32 3
		.amdhsa_float_denorm_mode_16_64 3
		.amdhsa_fp16_overflow 0
		.amdhsa_memory_ordered 1
		.amdhsa_forward_progress 1
		.amdhsa_inst_pref_size 6
		.amdhsa_round_robin_scheduling 0
		.amdhsa_exception_fp_ieee_invalid_op 0
		.amdhsa_exception_fp_denorm_src 0
		.amdhsa_exception_fp_ieee_div_zero 0
		.amdhsa_exception_fp_ieee_overflow 0
		.amdhsa_exception_fp_ieee_underflow 0
		.amdhsa_exception_fp_ieee_inexact 0
		.amdhsa_exception_int_div_zero 0
	.end_amdhsa_kernel
	.section	.text._ZL27rocblas_geam_2matrix_deviceILi16ELi16E19rocblas_complex_numIfEPKS1_PS1_Ev18rocblas_operation_iiT1_T2_lllT3_llli,"axG",@progbits,_ZL27rocblas_geam_2matrix_deviceILi16ELi16E19rocblas_complex_numIfEPKS1_PS1_Ev18rocblas_operation_iiT1_T2_lllT3_llli,comdat
.Lfunc_end22:
	.size	_ZL27rocblas_geam_2matrix_deviceILi16ELi16E19rocblas_complex_numIfEPKS1_PS1_Ev18rocblas_operation_iiT1_T2_lllT3_llli, .Lfunc_end22-_ZL27rocblas_geam_2matrix_deviceILi16ELi16E19rocblas_complex_numIfEPKS1_PS1_Ev18rocblas_operation_iiT1_T2_lllT3_llli
                                        ; -- End function
	.set _ZL27rocblas_geam_2matrix_deviceILi16ELi16E19rocblas_complex_numIfEPKS1_PS1_Ev18rocblas_operation_iiT1_T2_lllT3_llli.num_vgpr, 16
	.set _ZL27rocblas_geam_2matrix_deviceILi16ELi16E19rocblas_complex_numIfEPKS1_PS1_Ev18rocblas_operation_iiT1_T2_lllT3_llli.num_agpr, 0
	.set _ZL27rocblas_geam_2matrix_deviceILi16ELi16E19rocblas_complex_numIfEPKS1_PS1_Ev18rocblas_operation_iiT1_T2_lllT3_llli.numbered_sgpr, 31
	.set _ZL27rocblas_geam_2matrix_deviceILi16ELi16E19rocblas_complex_numIfEPKS1_PS1_Ev18rocblas_operation_iiT1_T2_lllT3_llli.num_named_barrier, 0
	.set _ZL27rocblas_geam_2matrix_deviceILi16ELi16E19rocblas_complex_numIfEPKS1_PS1_Ev18rocblas_operation_iiT1_T2_lllT3_llli.private_seg_size, 0
	.set _ZL27rocblas_geam_2matrix_deviceILi16ELi16E19rocblas_complex_numIfEPKS1_PS1_Ev18rocblas_operation_iiT1_T2_lllT3_llli.uses_vcc, 1
	.set _ZL27rocblas_geam_2matrix_deviceILi16ELi16E19rocblas_complex_numIfEPKS1_PS1_Ev18rocblas_operation_iiT1_T2_lllT3_llli.uses_flat_scratch, 0
	.set _ZL27rocblas_geam_2matrix_deviceILi16ELi16E19rocblas_complex_numIfEPKS1_PS1_Ev18rocblas_operation_iiT1_T2_lllT3_llli.has_dyn_sized_stack, 0
	.set _ZL27rocblas_geam_2matrix_deviceILi16ELi16E19rocblas_complex_numIfEPKS1_PS1_Ev18rocblas_operation_iiT1_T2_lllT3_llli.has_recursion, 0
	.set _ZL27rocblas_geam_2matrix_deviceILi16ELi16E19rocblas_complex_numIfEPKS1_PS1_Ev18rocblas_operation_iiT1_T2_lllT3_llli.has_indirect_call, 0
	.section	.AMDGPU.csdata,"",@progbits
; Kernel info:
; codeLenInByte = 732
; TotalNumSgprs: 33
; NumVgprs: 16
; ScratchSize: 0
; MemoryBound: 0
; FloatMode: 240
; IeeeMode: 1
; LDSByteSize: 0 bytes/workgroup (compile time only)
; SGPRBlocks: 0
; VGPRBlocks: 0
; NumSGPRsForWavesPerEU: 33
; NumVGPRsForWavesPerEU: 16
; NamedBarCnt: 0
; Occupancy: 16
; WaveLimiterHint : 0
; COMPUTE_PGM_RSRC2:SCRATCH_EN: 0
; COMPUTE_PGM_RSRC2:USER_SGPR: 2
; COMPUTE_PGM_RSRC2:TRAP_HANDLER: 0
; COMPUTE_PGM_RSRC2:TGID_X_EN: 1
; COMPUTE_PGM_RSRC2:TGID_Y_EN: 0
; COMPUTE_PGM_RSRC2:TGID_Z_EN: 1
; COMPUTE_PGM_RSRC2:TIDIG_COMP_CNT: 1
	.section	.text._ZL22rocblas_geam_1D_deviceILi256E19rocblas_complex_numIfEPKS1_PS1_EvmT0_T1_llS5_S6_llT2_lli,"axG",@progbits,_ZL22rocblas_geam_1D_deviceILi256E19rocblas_complex_numIfEPKS1_PS1_EvmT0_T1_llS5_S6_llT2_lli,comdat
	.globl	_ZL22rocblas_geam_1D_deviceILi256E19rocblas_complex_numIfEPKS1_PS1_EvmT0_T1_llS5_S6_llT2_lli ; -- Begin function _ZL22rocblas_geam_1D_deviceILi256E19rocblas_complex_numIfEPKS1_PS1_EvmT0_T1_llS5_S6_llT2_lli
	.p2align	8
	.type	_ZL22rocblas_geam_1D_deviceILi256E19rocblas_complex_numIfEPKS1_PS1_EvmT0_T1_llS5_S6_llT2_lli,@function
_ZL22rocblas_geam_1D_deviceILi256E19rocblas_complex_numIfEPKS1_PS1_EvmT0_T1_llS5_S6_llT2_lli: ; @_ZL22rocblas_geam_1D_deviceILi256E19rocblas_complex_numIfEPKS1_PS1_EvmT0_T1_llS5_S6_llT2_lli
; %bb.0:
	s_load_b32 s28, s[0:1], 0x60
	s_bfe_u32 s2, ttmp6, 0x40014
	s_lshr_b32 s3, ttmp7, 16
	s_add_co_i32 s2, s2, 1
	s_bfe_u32 s4, ttmp6, 0x40008
	s_mul_i32 s2, s3, s2
	s_getreg_b32 s29, hwreg(HW_REG_IB_STS2, 6, 4)
	s_add_co_i32 s4, s4, s2
	s_cmp_eq_u32 s29, 0
	s_cselect_b32 s2, s3, s4
	s_mov_b32 s3, 0
	s_wait_kmcnt 0x0
	s_cmp_ge_u32 s2, s28
	s_cbranch_scc1 .LBB23_12
; %bb.1:
	s_clause 0x3
	s_load_b32 s30, s[0:1], 0x74
	s_load_b128 s[20:23], s[0:1], 0x50
	s_load_b256 s[4:11], s[0:1], 0x0
	s_load_b256 s[12:19], s[0:1], 0x30
	s_bfe_u32 s31, ttmp6, 0x4000c
	s_load_b128 s[24:27], s[0:1], 0x20
	s_add_co_i32 s31, s31, 1
	s_wait_xcnt 0x0
	s_and_b32 s0, ttmp6, 15
	s_mul_i32 s1, ttmp9, s31
	v_mov_b32_e32 v1, 0
	s_add_co_i32 s0, s0, s1
	v_mov_b64_e32 v[2:3], 0
	s_wait_kmcnt 0x0
	s_and_b32 s33, s30, 0xffff
	s_cmp_eq_u32 s29, 0
	s_cselect_b32 s29, ttmp9, s0
	s_lshl_b64 s[0:1], s[20:21], 3
	s_lshl_b64 s[20:21], s[10:11], 3
	;; [unrolled: 1-line block ×3, first 2 shown]
	s_cmp_neq_f32 s6, 0
	v_mad_nc_u64_u32 v[0:1], s33, s29, v[0:1]
	s_add_nc_u64 s[14:15], s[18:19], s[0:1]
	s_add_nc_u64 s[8:9], s[8:9], s[20:21]
	s_cselect_b32 s11, -1, 0
	s_cmp_neq_f32 s7, 0
	s_add_nc_u64 s[12:13], s[12:13], s[30:31]
	s_mov_b32 s10, s27
	s_cselect_b32 s29, -1, 0
	s_delay_alu instid0(SALU_CYCLE_1) | instskip(SKIP_1) | instid1(VALU_DEP_1)
	s_or_b32 s1, s11, s29
	s_cmp_neq_f32 s26, 0
	v_lshlrev_b64_e32 v[6:7], 3, v[0:1]
	v_cmp_gt_u64_e64 s0, s[4:5], v[0:1]
	v_cndmask_b32_e64 v14, 0, 1, s1
	s_cselect_b32 s11, -1, 0
	s_cmp_neq_f32 s27, 0
	s_mov_b32 s5, s6
	v_add_nc_u64_e32 v[4:5], s[12:13], v[6:7]
	s_cselect_b32 s4, -1, 0
	v_add_nc_u64_e32 v[6:7], s[8:9], v[6:7]
	s_or_b32 s4, s11, s4
	s_mov_b32 s11, s26
	v_cndmask_b32_e64 v15, 0, 1, s4
	s_nor_b32 s1, s4, s1
	s_mov_b32 s4, s7
	s_branch .LBB23_4
.LBB23_2:                               ;   in Loop: Header=BB23_4 Depth=1
	s_delay_alu instid0(VALU_DEP_1)
	v_pk_add_f32 v[10:11], v[12:13], v[10:11]
	global_store_b64 v[8:9], v[10:11], off
.LBB23_3:                               ;   in Loop: Header=BB23_4 Depth=1
	s_wait_xcnt 0x0
	s_or_b32 exec_lo, exec_lo, s8
	s_add_co_i32 s2, s2, 0x10000
	s_delay_alu instid0(SALU_CYCLE_1)
	s_cmp_lt_u32 s2, s28
	s_cbranch_scc0 .LBB23_12
.LBB23_4:                               ; =>This Inner Loop Header: Depth=1
	s_and_saveexec_b32 s8, s0
	s_cbranch_execz .LBB23_3
; %bb.5:                                ;   in Loop: Header=BB23_4 Depth=1
	s_mul_u64 s[12:13], s[22:23], s[2:3]
	s_and_not1_b32 vcc_lo, exec_lo, s1
	s_lshl_b64 s[12:13], s[12:13], 3
	s_mov_b32 s9, -1
	s_add_nc_u64 s[12:13], s[14:15], s[12:13]
	s_delay_alu instid0(SALU_CYCLE_1)
	v_lshl_add_u64 v[8:9], v[0:1], 3, s[12:13]
	s_cbranch_vccnz .LBB23_7
; %bb.6:                                ;   in Loop: Header=BB23_4 Depth=1
	s_mov_b32 s9, 0
	global_store_b64 v[8:9], v[2:3], off
.LBB23_7:                               ;   in Loop: Header=BB23_4 Depth=1
	s_and_not1_b32 vcc_lo, exec_lo, s9
	s_cbranch_vccnz .LBB23_3
; %bb.8:                                ;   in Loop: Header=BB23_4 Depth=1
	v_cmp_ne_u32_e32 vcc_lo, 1, v15
	v_dual_mov_b32 v10, 0 :: v_dual_mov_b32 v12, 0
	v_mov_b32_e32 v13, 0
	s_cbranch_vccnz .LBB23_10
; %bb.9:                                ;   in Loop: Header=BB23_4 Depth=1
	s_mul_u64 s[12:13], s[16:17], s[2:3]
	v_mov_b64_e32 v[16:17], s[10:11]
	v_lshl_add_u64 v[12:13], s[12:13], 3, v[4:5]
	v_mov_b64_e32 v[18:19], s[26:27]
	global_load_b64 v[12:13], v[12:13], off
	s_wait_loadcnt 0x0
	v_pk_mul_f32 v[16:17], v[12:13], v[16:17] op_sel:[1,0]
	v_pk_mul_f32 v[20:21], v[12:13], v[18:19] op_sel_hi:[0,1]
	s_wait_xcnt 0x0
	s_delay_alu instid0(VALU_DEP_2) | instskip(NEXT) | instid1(VALU_DEP_2)
	v_pk_fma_f32 v[12:13], v[12:13], v[18:19], v[16:17] op_sel_hi:[0,1,1]
	v_sub_f32_e32 v12, v20, v16
.LBB23_10:                              ;   in Loop: Header=BB23_4 Depth=1
	v_cmp_ne_u32_e32 vcc_lo, 1, v14
	v_mov_b32_e32 v11, 0
	s_cbranch_vccnz .LBB23_2
; %bb.11:                               ;   in Loop: Header=BB23_4 Depth=1
	s_mul_u64 s[12:13], s[24:25], s[2:3]
	v_mov_b64_e32 v[16:17], s[4:5]
	v_lshl_add_u64 v[10:11], s[12:13], 3, v[6:7]
	v_mov_b64_e32 v[18:19], s[6:7]
	global_load_b64 v[10:11], v[10:11], off
	s_wait_loadcnt 0x0
	v_pk_mul_f32 v[16:17], v[10:11], v[16:17] op_sel:[1,0]
	v_pk_mul_f32 v[20:21], v[10:11], v[18:19] op_sel_hi:[0,1]
	s_wait_xcnt 0x0
	s_delay_alu instid0(VALU_DEP_2) | instskip(NEXT) | instid1(VALU_DEP_2)
	v_pk_fma_f32 v[10:11], v[10:11], v[18:19], v[16:17] op_sel_hi:[0,1,1]
	v_sub_f32_e32 v10, v20, v16
	s_branch .LBB23_2
.LBB23_12:
	s_endpgm
	.section	.rodata,"a",@progbits
	.p2align	6, 0x0
	.amdhsa_kernel _ZL22rocblas_geam_1D_deviceILi256E19rocblas_complex_numIfEPKS1_PS1_EvmT0_T1_llS5_S6_llT2_lli
		.amdhsa_group_segment_fixed_size 0
		.amdhsa_private_segment_fixed_size 0
		.amdhsa_kernarg_size 360
		.amdhsa_user_sgpr_count 2
		.amdhsa_user_sgpr_dispatch_ptr 0
		.amdhsa_user_sgpr_queue_ptr 0
		.amdhsa_user_sgpr_kernarg_segment_ptr 1
		.amdhsa_user_sgpr_dispatch_id 0
		.amdhsa_user_sgpr_kernarg_preload_length 0
		.amdhsa_user_sgpr_kernarg_preload_offset 0
		.amdhsa_user_sgpr_private_segment_size 0
		.amdhsa_wavefront_size32 1
		.amdhsa_uses_dynamic_stack 0
		.amdhsa_enable_private_segment 0
		.amdhsa_system_sgpr_workgroup_id_x 1
		.amdhsa_system_sgpr_workgroup_id_y 0
		.amdhsa_system_sgpr_workgroup_id_z 1
		.amdhsa_system_sgpr_workgroup_info 0
		.amdhsa_system_vgpr_workitem_id 0
		.amdhsa_next_free_vgpr 22
		.amdhsa_next_free_sgpr 34
		.amdhsa_named_barrier_count 0
		.amdhsa_reserve_vcc 1
		.amdhsa_float_round_mode_32 0
		.amdhsa_float_round_mode_16_64 0
		.amdhsa_float_denorm_mode_32 3
		.amdhsa_float_denorm_mode_16_64 3
		.amdhsa_fp16_overflow 0
		.amdhsa_memory_ordered 1
		.amdhsa_forward_progress 1
		.amdhsa_inst_pref_size 5
		.amdhsa_round_robin_scheduling 0
		.amdhsa_exception_fp_ieee_invalid_op 0
		.amdhsa_exception_fp_denorm_src 0
		.amdhsa_exception_fp_ieee_div_zero 0
		.amdhsa_exception_fp_ieee_overflow 0
		.amdhsa_exception_fp_ieee_underflow 0
		.amdhsa_exception_fp_ieee_inexact 0
		.amdhsa_exception_int_div_zero 0
	.end_amdhsa_kernel
	.section	.text._ZL22rocblas_geam_1D_deviceILi256E19rocblas_complex_numIfEPKS1_PS1_EvmT0_T1_llS5_S6_llT2_lli,"axG",@progbits,_ZL22rocblas_geam_1D_deviceILi256E19rocblas_complex_numIfEPKS1_PS1_EvmT0_T1_llS5_S6_llT2_lli,comdat
.Lfunc_end23:
	.size	_ZL22rocblas_geam_1D_deviceILi256E19rocblas_complex_numIfEPKS1_PS1_EvmT0_T1_llS5_S6_llT2_lli, .Lfunc_end23-_ZL22rocblas_geam_1D_deviceILi256E19rocblas_complex_numIfEPKS1_PS1_EvmT0_T1_llS5_S6_llT2_lli
                                        ; -- End function
	.set _ZL22rocblas_geam_1D_deviceILi256E19rocblas_complex_numIfEPKS1_PS1_EvmT0_T1_llS5_S6_llT2_lli.num_vgpr, 22
	.set _ZL22rocblas_geam_1D_deviceILi256E19rocblas_complex_numIfEPKS1_PS1_EvmT0_T1_llS5_S6_llT2_lli.num_agpr, 0
	.set _ZL22rocblas_geam_1D_deviceILi256E19rocblas_complex_numIfEPKS1_PS1_EvmT0_T1_llS5_S6_llT2_lli.numbered_sgpr, 34
	.set _ZL22rocblas_geam_1D_deviceILi256E19rocblas_complex_numIfEPKS1_PS1_EvmT0_T1_llS5_S6_llT2_lli.num_named_barrier, 0
	.set _ZL22rocblas_geam_1D_deviceILi256E19rocblas_complex_numIfEPKS1_PS1_EvmT0_T1_llS5_S6_llT2_lli.private_seg_size, 0
	.set _ZL22rocblas_geam_1D_deviceILi256E19rocblas_complex_numIfEPKS1_PS1_EvmT0_T1_llS5_S6_llT2_lli.uses_vcc, 1
	.set _ZL22rocblas_geam_1D_deviceILi256E19rocblas_complex_numIfEPKS1_PS1_EvmT0_T1_llS5_S6_llT2_lli.uses_flat_scratch, 0
	.set _ZL22rocblas_geam_1D_deviceILi256E19rocblas_complex_numIfEPKS1_PS1_EvmT0_T1_llS5_S6_llT2_lli.has_dyn_sized_stack, 0
	.set _ZL22rocblas_geam_1D_deviceILi256E19rocblas_complex_numIfEPKS1_PS1_EvmT0_T1_llS5_S6_llT2_lli.has_recursion, 0
	.set _ZL22rocblas_geam_1D_deviceILi256E19rocblas_complex_numIfEPKS1_PS1_EvmT0_T1_llS5_S6_llT2_lli.has_indirect_call, 0
	.section	.AMDGPU.csdata,"",@progbits
; Kernel info:
; codeLenInByte = 612
; TotalNumSgprs: 36
; NumVgprs: 22
; ScratchSize: 0
; MemoryBound: 0
; FloatMode: 240
; IeeeMode: 1
; LDSByteSize: 0 bytes/workgroup (compile time only)
; SGPRBlocks: 0
; VGPRBlocks: 1
; NumSGPRsForWavesPerEU: 36
; NumVGPRsForWavesPerEU: 22
; NamedBarCnt: 0
; Occupancy: 16
; WaveLimiterHint : 0
; COMPUTE_PGM_RSRC2:SCRATCH_EN: 0
; COMPUTE_PGM_RSRC2:USER_SGPR: 2
; COMPUTE_PGM_RSRC2:TRAP_HANDLER: 0
; COMPUTE_PGM_RSRC2:TGID_X_EN: 1
; COMPUTE_PGM_RSRC2:TGID_Y_EN: 0
; COMPUTE_PGM_RSRC2:TGID_Z_EN: 1
; COMPUTE_PGM_RSRC2:TIDIG_COMP_CNT: 0
	.section	.text._ZL22rocblas_geam_1D_deviceILi256EPK19rocblas_complex_numIfES3_PS1_EvmT0_T1_llS5_S6_llT2_lli,"axG",@progbits,_ZL22rocblas_geam_1D_deviceILi256EPK19rocblas_complex_numIfES3_PS1_EvmT0_T1_llS5_S6_llT2_lli,comdat
	.globl	_ZL22rocblas_geam_1D_deviceILi256EPK19rocblas_complex_numIfES3_PS1_EvmT0_T1_llS5_S6_llT2_lli ; -- Begin function _ZL22rocblas_geam_1D_deviceILi256EPK19rocblas_complex_numIfES3_PS1_EvmT0_T1_llS5_S6_llT2_lli
	.p2align	8
	.type	_ZL22rocblas_geam_1D_deviceILi256EPK19rocblas_complex_numIfES3_PS1_EvmT0_T1_llS5_S6_llT2_lli,@function
_ZL22rocblas_geam_1D_deviceILi256EPK19rocblas_complex_numIfES3_PS1_EvmT0_T1_llS5_S6_llT2_lli: ; @_ZL22rocblas_geam_1D_deviceILi256EPK19rocblas_complex_numIfES3_PS1_EvmT0_T1_llS5_S6_llT2_lli
; %bb.0:
	s_load_b32 s30, s[0:1], 0x60
	s_bfe_u32 s2, ttmp6, 0x40014
	s_lshr_b32 s3, ttmp7, 16
	s_add_co_i32 s2, s2, 1
	s_bfe_u32 s5, ttmp6, 0x40008
	s_mul_i32 s4, s3, s2
	s_getreg_b32 s2, hwreg(HW_REG_IB_STS2, 6, 4)
	s_add_co_i32 s5, s5, s4
	s_cmp_eq_u32 s2, 0
	s_mov_b32 s29, 0
	s_cselect_b32 s28, s3, s5
	s_wait_kmcnt 0x0
	s_cmp_ge_u32 s28, s30
	s_cbranch_scc1 .LBB24_12
; %bb.1:
	s_load_b32 s3, s[0:1], 0x74
	s_bfe_u32 s20, ttmp6, 0x4000c
	s_and_b32 s21, ttmp6, 15
	s_add_co_i32 s20, s20, 1
	s_load_b512 s[4:19], s[0:1], 0x0
	s_mul_i32 s20, ttmp9, s20
	v_mov_b32_e32 v1, 0
	s_add_co_i32 s21, s21, s20
	v_mov_b64_e32 v[8:9], 0
	s_wait_kmcnt 0x0
	s_and_b32 s3, s3, 0xffff
	s_cmp_eq_u32 s2, 0
	s_cselect_b32 s2, ttmp9, s21
	s_load_b256 s[20:27], s[0:1], 0x40
	v_mad_nc_u64_u32 v[2:3], s3, s2, v[0:1]
	s_wait_xcnt 0x0
	s_lshl_b64 s[0:1], s[10:11], 3
	s_lshl_b64 s[2:3], s[18:19], 3
	s_add_nc_u64 s[8:9], s[8:9], s[0:1]
	s_add_nc_u64 s[2:3], s[16:17], s[2:3]
	s_delay_alu instid0(VALU_DEP_1) | instskip(SKIP_1) | instid1(VALU_DEP_2)
	v_lshlrev_b64_e32 v[6:7], 3, v[2:3]
	v_cmp_gt_u64_e64 s0, s[4:5], v[2:3]
	v_add_nc_u64_e32 v[4:5], s[2:3], v[6:7]
	v_add_nc_u64_e32 v[6:7], s[8:9], v[6:7]
	s_wait_kmcnt 0x0
	s_lshl_b64 s[2:3], s[24:25], 3
	s_delay_alu instid0(SALU_CYCLE_1)
	s_add_nc_u64 s[4:5], s[22:23], s[2:3]
	s_branch .LBB24_3
.LBB24_2:                               ;   in Loop: Header=BB24_3 Depth=1
	s_wait_xcnt 0x0
	s_or_b32 exec_lo, exec_lo, s8
	s_add_co_i32 s28, s28, 0x10000
	s_delay_alu instid0(SALU_CYCLE_1)
	s_cmp_lt_u32 s28, s30
	s_cbranch_scc0 .LBB24_12
.LBB24_3:                               ; =>This Inner Loop Header: Depth=1
	s_and_saveexec_b32 s8, s0
	s_cbranch_execz .LBB24_2
; %bb.4:                                ;   in Loop: Header=BB24_3 Depth=1
	s_clause 0x1
	global_load_b64 v[10:11], v1, s[6:7]
	global_load_b64 v[12:13], v1, s[14:15]
	s_wait_loadcnt 0x1
	v_cmp_eq_f32_e32 vcc_lo, 0, v10
	v_cmp_eq_f32_e64 s1, 0, v11
	s_wait_loadcnt 0x0
	v_cmp_eq_f32_e64 s2, 0, v12
	v_cmp_eq_f32_e64 s3, 0, v13
	s_and_b32 s1, vcc_lo, s1
	s_and_b32 s2, s2, s3
	s_delay_alu instid0(SALU_CYCLE_1)
	s_and_b32 s1, s1, s2
	s_mul_u64 s[2:3], s[26:27], s[28:29]
	s_and_not1_b32 vcc_lo, exec_lo, s1
	s_lshl_b64 s[2:3], s[2:3], 3
	s_mov_b32 s1, -1
	s_add_nc_u64 s[2:3], s[4:5], s[2:3]
	s_cbranch_vccz .LBB24_10
; %bb.5:                                ;   in Loop: Header=BB24_3 Depth=1
	v_cmp_neq_f32_e32 vcc_lo, 0, v12
	v_cmp_neq_f32_e64 s1, 0, v13
	v_dual_mov_b32 v14, 0 :: v_dual_mov_b32 v16, 0
	v_mov_b32_e32 v17, 0
	s_or_b32 s1, vcc_lo, s1
	s_delay_alu instid0(SALU_CYCLE_1)
	s_and_not1_b32 vcc_lo, exec_lo, s1
	s_cbranch_vccnz .LBB24_7
; %bb.6:                                ;   in Loop: Header=BB24_3 Depth=1
	s_mul_u64 s[10:11], s[20:21], s[28:29]
	s_delay_alu instid0(SALU_CYCLE_1)
	v_lshl_add_u64 v[16:17], s[10:11], 3, v[4:5]
	global_load_b64 v[16:17], v[16:17], off
	s_wait_loadcnt 0x0
	v_pk_mul_f32 v[18:19], v[16:17], v[12:13] op_sel:[1,1] op_sel_hi:[1,0]
	v_pk_mul_f32 v[20:21], v[16:17], v[12:13] op_sel_hi:[0,1]
	s_wait_xcnt 0x0
	s_delay_alu instid0(VALU_DEP_2) | instskip(NEXT) | instid1(VALU_DEP_2)
	v_pk_fma_f32 v[16:17], v[16:17], v[12:13], v[18:19] op_sel_hi:[0,1,1]
	v_sub_f32_e32 v16, v20, v18
.LBB24_7:                               ;   in Loop: Header=BB24_3 Depth=1
	v_cmp_neq_f32_e32 vcc_lo, 0, v10
	v_cmp_neq_f32_e64 s1, 0, v11
	v_mov_b32_e32 v15, 0
	s_or_b32 s1, vcc_lo, s1
	s_delay_alu instid0(SALU_CYCLE_1)
	s_and_not1_b32 vcc_lo, exec_lo, s1
	s_cbranch_vccnz .LBB24_9
; %bb.8:                                ;   in Loop: Header=BB24_3 Depth=1
	s_mul_u64 s[10:11], s[12:13], s[28:29]
	s_delay_alu instid0(SALU_CYCLE_1) | instskip(SKIP_4) | instid1(VALU_DEP_2)
	v_lshl_add_u64 v[12:13], s[10:11], 3, v[6:7]
	global_load_b64 v[12:13], v[12:13], off
	s_wait_loadcnt 0x0
	v_pk_mul_f32 v[18:19], v[12:13], v[10:11] op_sel:[1,1] op_sel_hi:[1,0]
	v_pk_mul_f32 v[20:21], v[12:13], v[10:11] op_sel_hi:[0,1]
	v_pk_fma_f32 v[14:15], v[12:13], v[10:11], v[18:19] op_sel_hi:[0,1,1]
	s_delay_alu instid0(VALU_DEP_2)
	v_sub_f32_e32 v14, v20, v18
.LBB24_9:                               ;   in Loop: Header=BB24_3 Depth=1
	s_delay_alu instid0(VALU_DEP_1)
	v_pk_add_f32 v[10:11], v[16:17], v[14:15]
	s_wait_xcnt 0x0
	v_lshl_add_u64 v[12:13], v[2:3], 3, s[2:3]
	s_mov_b32 s1, 0
	global_store_b64 v[12:13], v[10:11], off
.LBB24_10:                              ;   in Loop: Header=BB24_3 Depth=1
	s_and_b32 vcc_lo, exec_lo, s1
	s_cbranch_vccz .LBB24_2
; %bb.11:                               ;   in Loop: Header=BB24_3 Depth=1
	s_wait_xcnt 0x0
	v_lshl_add_u64 v[10:11], v[2:3], 3, s[2:3]
	global_store_b64 v[10:11], v[8:9], off
	s_branch .LBB24_2
.LBB24_12:
	s_endpgm
	.section	.rodata,"a",@progbits
	.p2align	6, 0x0
	.amdhsa_kernel _ZL22rocblas_geam_1D_deviceILi256EPK19rocblas_complex_numIfES3_PS1_EvmT0_T1_llS5_S6_llT2_lli
		.amdhsa_group_segment_fixed_size 0
		.amdhsa_private_segment_fixed_size 0
		.amdhsa_kernarg_size 360
		.amdhsa_user_sgpr_count 2
		.amdhsa_user_sgpr_dispatch_ptr 0
		.amdhsa_user_sgpr_queue_ptr 0
		.amdhsa_user_sgpr_kernarg_segment_ptr 1
		.amdhsa_user_sgpr_dispatch_id 0
		.amdhsa_user_sgpr_kernarg_preload_length 0
		.amdhsa_user_sgpr_kernarg_preload_offset 0
		.amdhsa_user_sgpr_private_segment_size 0
		.amdhsa_wavefront_size32 1
		.amdhsa_uses_dynamic_stack 0
		.amdhsa_enable_private_segment 0
		.amdhsa_system_sgpr_workgroup_id_x 1
		.amdhsa_system_sgpr_workgroup_id_y 0
		.amdhsa_system_sgpr_workgroup_id_z 1
		.amdhsa_system_sgpr_workgroup_info 0
		.amdhsa_system_vgpr_workitem_id 0
		.amdhsa_next_free_vgpr 22
		.amdhsa_next_free_sgpr 31
		.amdhsa_named_barrier_count 0
		.amdhsa_reserve_vcc 1
		.amdhsa_float_round_mode_32 0
		.amdhsa_float_round_mode_16_64 0
		.amdhsa_float_denorm_mode_32 3
		.amdhsa_float_denorm_mode_16_64 3
		.amdhsa_fp16_overflow 0
		.amdhsa_memory_ordered 1
		.amdhsa_forward_progress 1
		.amdhsa_inst_pref_size 6
		.amdhsa_round_robin_scheduling 0
		.amdhsa_exception_fp_ieee_invalid_op 0
		.amdhsa_exception_fp_denorm_src 0
		.amdhsa_exception_fp_ieee_div_zero 0
		.amdhsa_exception_fp_ieee_overflow 0
		.amdhsa_exception_fp_ieee_underflow 0
		.amdhsa_exception_fp_ieee_inexact 0
		.amdhsa_exception_int_div_zero 0
	.end_amdhsa_kernel
	.section	.text._ZL22rocblas_geam_1D_deviceILi256EPK19rocblas_complex_numIfES3_PS1_EvmT0_T1_llS5_S6_llT2_lli,"axG",@progbits,_ZL22rocblas_geam_1D_deviceILi256EPK19rocblas_complex_numIfES3_PS1_EvmT0_T1_llS5_S6_llT2_lli,comdat
.Lfunc_end24:
	.size	_ZL22rocblas_geam_1D_deviceILi256EPK19rocblas_complex_numIfES3_PS1_EvmT0_T1_llS5_S6_llT2_lli, .Lfunc_end24-_ZL22rocblas_geam_1D_deviceILi256EPK19rocblas_complex_numIfES3_PS1_EvmT0_T1_llS5_S6_llT2_lli
                                        ; -- End function
	.set _ZL22rocblas_geam_1D_deviceILi256EPK19rocblas_complex_numIfES3_PS1_EvmT0_T1_llS5_S6_llT2_lli.num_vgpr, 22
	.set _ZL22rocblas_geam_1D_deviceILi256EPK19rocblas_complex_numIfES3_PS1_EvmT0_T1_llS5_S6_llT2_lli.num_agpr, 0
	.set _ZL22rocblas_geam_1D_deviceILi256EPK19rocblas_complex_numIfES3_PS1_EvmT0_T1_llS5_S6_llT2_lli.numbered_sgpr, 31
	.set _ZL22rocblas_geam_1D_deviceILi256EPK19rocblas_complex_numIfES3_PS1_EvmT0_T1_llS5_S6_llT2_lli.num_named_barrier, 0
	.set _ZL22rocblas_geam_1D_deviceILi256EPK19rocblas_complex_numIfES3_PS1_EvmT0_T1_llS5_S6_llT2_lli.private_seg_size, 0
	.set _ZL22rocblas_geam_1D_deviceILi256EPK19rocblas_complex_numIfES3_PS1_EvmT0_T1_llS5_S6_llT2_lli.uses_vcc, 1
	.set _ZL22rocblas_geam_1D_deviceILi256EPK19rocblas_complex_numIfES3_PS1_EvmT0_T1_llS5_S6_llT2_lli.uses_flat_scratch, 0
	.set _ZL22rocblas_geam_1D_deviceILi256EPK19rocblas_complex_numIfES3_PS1_EvmT0_T1_llS5_S6_llT2_lli.has_dyn_sized_stack, 0
	.set _ZL22rocblas_geam_1D_deviceILi256EPK19rocblas_complex_numIfES3_PS1_EvmT0_T1_llS5_S6_llT2_lli.has_recursion, 0
	.set _ZL22rocblas_geam_1D_deviceILi256EPK19rocblas_complex_numIfES3_PS1_EvmT0_T1_llS5_S6_llT2_lli.has_indirect_call, 0
	.section	.AMDGPU.csdata,"",@progbits
; Kernel info:
; codeLenInByte = 644
; TotalNumSgprs: 33
; NumVgprs: 22
; ScratchSize: 0
; MemoryBound: 0
; FloatMode: 240
; IeeeMode: 1
; LDSByteSize: 0 bytes/workgroup (compile time only)
; SGPRBlocks: 0
; VGPRBlocks: 1
; NumSGPRsForWavesPerEU: 33
; NumVGPRsForWavesPerEU: 22
; NamedBarCnt: 0
; Occupancy: 16
; WaveLimiterHint : 0
; COMPUTE_PGM_RSRC2:SCRATCH_EN: 0
; COMPUTE_PGM_RSRC2:USER_SGPR: 2
; COMPUTE_PGM_RSRC2:TRAP_HANDLER: 0
; COMPUTE_PGM_RSRC2:TGID_X_EN: 1
; COMPUTE_PGM_RSRC2:TGID_Y_EN: 0
; COMPUTE_PGM_RSRC2:TGID_Z_EN: 1
; COMPUTE_PGM_RSRC2:TIDIG_COMP_CNT: 0
	.section	.text._ZL19rocblas_geam_deviceILi16ELi16E19rocblas_complex_numIfEPKS1_PS1_Ev18rocblas_operation_S5_iiT1_T2_lllS6_S7_lllT3_llli,"axG",@progbits,_ZL19rocblas_geam_deviceILi16ELi16E19rocblas_complex_numIfEPKS1_PS1_Ev18rocblas_operation_S5_iiT1_T2_lllS6_S7_lllT3_llli,comdat
	.globl	_ZL19rocblas_geam_deviceILi16ELi16E19rocblas_complex_numIfEPKS1_PS1_Ev18rocblas_operation_S5_iiT1_T2_lllS6_S7_lllT3_llli ; -- Begin function _ZL19rocblas_geam_deviceILi16ELi16E19rocblas_complex_numIfEPKS1_PS1_Ev18rocblas_operation_S5_iiT1_T2_lllS6_S7_lllT3_llli
	.p2align	8
	.type	_ZL19rocblas_geam_deviceILi16ELi16E19rocblas_complex_numIfEPKS1_PS1_Ev18rocblas_operation_S5_iiT1_T2_lllS6_S7_lllT3_llli,@function
_ZL19rocblas_geam_deviceILi16ELi16E19rocblas_complex_numIfEPKS1_PS1_Ev18rocblas_operation_S5_iiT1_T2_lllS6_S7_lllT3_llli: ; @_ZL19rocblas_geam_deviceILi16ELi16E19rocblas_complex_numIfEPKS1_PS1_Ev18rocblas_operation_S5_iiT1_T2_lllS6_S7_lllT3_llli
; %bb.0:
	s_load_b32 s33, s[0:1], 0x80
	s_bfe_u32 s2, ttmp6, 0x40014
	s_lshr_b32 s3, ttmp7, 16
	s_add_co_i32 s2, s2, 1
	s_bfe_u32 s4, ttmp6, 0x40008
	s_mul_i32 s2, s3, s2
	s_getreg_b32 s36, hwreg(HW_REG_IB_STS2, 6, 4)
	s_add_co_i32 s4, s4, s2
	s_cmp_eq_u32 s36, 0
	s_cselect_b32 s2, s3, s4
	s_mov_b32 s3, 0
	s_wait_kmcnt 0x0
	s_cmp_ge_u32 s2, s33
	s_cbranch_scc1 .LBB25_9
; %bb.1:
	s_clause 0x1
	s_load_b128 s[28:31], s[0:1], 0x0
	s_load_b64 s[34:35], s[0:1], 0x10
	s_bfe_u32 s39, ttmp6, 0x4000c
	s_and_b32 s40, ttmp6, 15
	s_add_co_i32 s39, s39, 1
	v_and_b32_e32 v2, 0x3ff, v0
	s_mul_i32 s39, ttmp9, s39
	s_delay_alu instid0(SALU_CYCLE_1) | instskip(SKIP_2) | instid1(SALU_CYCLE_1)
	s_add_co_i32 s44, s40, s39
	s_wait_kmcnt 0x0
	s_add_co_i32 s4, s30, -1
	s_ashr_i32 s5, s4, 31
	s_delay_alu instid0(SALU_CYCLE_1) | instskip(NEXT) | instid1(SALU_CYCLE_1)
	s_lshr_b32 s5, s5, 28
	s_add_co_i32 s4, s4, s5
	s_delay_alu instid0(SALU_CYCLE_1) | instskip(SKIP_4) | instid1(SALU_CYCLE_3)
	s_ashr_i32 s37, s4, 4
	s_load_b512 s[4:19], s[0:1], 0x40
	s_add_co_i32 s42, s37, 1
	s_not_b32 s37, s37
	s_cvt_f32_u32 s20, s42
	v_rcp_iflag_f32_e32 v1, s20
	s_load_b256 s[20:27], s[0:1], 0x18
	v_nop
	s_delay_alu instid0(TRANS32_DEP_1) | instskip(SKIP_4) | instid1(SALU_CYCLE_1)
	v_readfirstlane_b32 s38, v1
	v_bfe_u32 v1, v0, 10, 10
	s_mul_f32 s38, s38, 0x4f7ffffe
	s_wait_kmcnt 0x0
	s_lshl_b64 s[40:41], s[14:15], 3
	s_cvt_u32_f32 s43, s38
	s_lshl_b64 s[38:39], s[6:7], 3
	s_delay_alu instid0(SALU_CYCLE_2)
	s_mul_i32 s37, s37, s43
	s_lshl_b64 s[22:23], s[22:23], 3
	s_mul_hi_u32 s6, s43, s37
	s_add_nc_u64 s[20:21], s[20:21], s[22:23]
	s_add_co_i32 s43, s43, s6
	s_cmp_eq_u32 s36, 0
	s_cselect_b32 s6, ttmp9, s44
	s_delay_alu instid0(SALU_CYCLE_1) | instskip(NEXT) | instid1(SALU_CYCLE_1)
	s_mul_hi_u32 s7, s6, s43
	s_mul_i32 s14, s7, s42
	s_add_co_i32 s15, s7, 1
	s_sub_co_i32 s14, s6, s14
	s_delay_alu instid0(SALU_CYCLE_1)
	s_sub_co_i32 s36, s14, s42
	s_cmp_ge_u32 s14, s42
	s_cselect_b32 s7, s15, s7
	s_cselect_b32 s14, s36, s14
	s_add_co_i32 s15, s7, 1
	s_cmp_ge_u32 s14, s42
	s_cselect_b32 s7, s15, s7
	s_delay_alu instid0(SALU_CYCLE_1) | instskip(SKIP_2) | instid1(SALU_CYCLE_1)
	s_mul_i32 s14, s7, s42
	v_lshl_add_u32 v0, s7, 4, v1
	s_sub_co_i32 s6, s6, s14
	v_lshl_add_u32 v2, s6, 4, v2
	s_load_b64 s[6:7], s[0:1], 0x38
	s_delay_alu instid0(VALU_DEP_2) | instskip(SKIP_1) | instid1(VALU_DEP_3)
	v_ashrrev_i32_e32 v1, 31, v0
	v_cmp_gt_i32_e32 vcc_lo, s31, v0
	v_ashrrev_i32_e32 v3, 31, v2
	s_wait_xcnt 0x0
	v_cmp_gt_i32_e64 s0, s30, v2
	v_mul_u64_e32 v[4:5], s[16:17], v[0:1]
	v_mad_nc_u64_u32 v[6:7], s24, v2, v[0:1]
	v_mad_nc_u64_u32 v[8:9], s8, v2, v[0:1]
	;; [unrolled: 1-line block ×4, first 2 shown]
	s_add_nc_u64 s[16:17], s[4:5], s[38:39]
	s_and_b32 s4, s0, vcc_lo
	s_cmp_eq_u32 s28, 0x6f
	s_cselect_b32 vcc_lo, -1, 0
	s_cmp_eq_u32 s29, 0x6f
	s_delay_alu instid0(VALU_DEP_4) | instskip(NEXT) | instid1(VALU_DEP_4)
	v_mad_u32 v7, s25, v2, v7
	v_mad_u32 v9, s9, v2, v9
	s_delay_alu instid0(VALU_DEP_4) | instskip(NEXT) | instid1(VALU_DEP_4)
	v_mad_u32 v11, s25, v0, v11
	v_mad_u32 v0, s9, v0, v13
	s_cselect_b32 s0, -1, 0
	s_or_b32 s1, s34, s35
	s_wait_kmcnt 0x0
	s_mov_b32 s14, s7
	s_bitset0_b32 s1, 31
	s_mov_b32 s15, s6
	s_cmp_lg_u32 s1, 0
	v_mad_u32 v7, s24, v3, v7
	v_mad_u32 v9, s8, v3, v9
	;; [unrolled: 1-line block ×4, first 2 shown]
	s_add_nc_u64 s[8:9], s[12:13], s[40:41]
	s_cselect_b32 s5, -1, 0
	s_or_b32 s1, s6, s7
	s_delay_alu instid0(SALU_CYCLE_1) | instskip(SKIP_4) | instid1(VALU_DEP_2)
	s_bitset0_b32 s1, 31
	v_lshl_add_u64 v[0:1], v[4:5], 3, s[8:9]
	s_cmp_lg_u32 s1, 0
	s_mov_b32 s1, s34
	s_cselect_b32 s8, -1, 0
	v_dual_cndmask_b32 v4, v8, v12, s0 :: v_dual_cndmask_b32 v5, v9, v13, s0
	v_lshl_add_u64 v[0:1], v[2:3], 3, v[0:1]
	v_dual_cndmask_b32 v3, v7, v11 :: v_dual_cndmask_b32 v2, v6, v10
	s_cmp_eq_u32 s28, 0x71
	s_delay_alu instid0(VALU_DEP_3)
	v_lshl_add_u64 v[4:5], v[4:5], 3, s[16:17]
	s_cselect_b32 s9, -1, 0
	s_cmp_eq_u32 s29, 0x71
	v_lshl_add_u64 v[2:3], v[2:3], 3, s[20:21]
	s_cselect_b32 s12, -1, 0
	s_mov_b32 s0, s35
	s_branch .LBB25_4
.LBB25_2:                               ;   in Loop: Header=BB25_4 Depth=1
	v_mov_b64_e32 v[12:13], s[14:15]
	s_wait_loadcnt 0x0
	v_dual_cndmask_b32 v10, v7, -v7, s12 :: v_dual_cndmask_b32 v14, v9, -v9, s9
	v_mov_b64_e32 v[16:17], s[0:1]
	v_mov_b64_e32 v[18:19], s[6:7]
	s_mul_u64 s[16:17], s[18:19], s[2:3]
	s_delay_alu instid0(VALU_DEP_3) | instskip(SKIP_1) | instid1(VALU_DEP_4)
	v_pk_mul_f32 v[10:11], v[10:11], v[12:13] op_sel_hi:[0,1]
	v_mov_b64_e32 v[12:13], s[34:35]
	v_pk_mul_f32 v[14:15], v[14:15], v[16:17] op_sel_hi:[0,1]
	s_delay_alu instid0(VALU_DEP_3)
	v_pk_fma_f32 v[16:17], v[6:7], v[18:19], v[10:11] op_sel_hi:[0,1,1]
	s_wait_xcnt 0x0
	v_pk_fma_f32 v[6:7], v[6:7], v[18:19], v[10:11] neg_lo:[0,0,1] neg_hi:[0,0,1]
	v_lshl_add_u64 v[10:11], s[16:17], 3, v[0:1]
	v_pk_fma_f32 v[20:21], v[8:9], v[12:13], v[14:15] op_sel_hi:[0,1,1]
	v_pk_fma_f32 v[8:9], v[8:9], v[12:13], v[14:15] neg_lo:[0,0,1] neg_hi:[0,0,1]
	s_delay_alu instid0(VALU_DEP_2) | instskip(NEXT) | instid1(VALU_DEP_1)
	v_dual_mov_b32 v7, v17 :: v_dual_mov_b32 v9, v21
	v_pk_add_f32 v[6:7], v[8:9], v[6:7]
	global_store_b64 v[10:11], v[6:7], off
.LBB25_3:                               ;   in Loop: Header=BB25_4 Depth=1
	s_wait_xcnt 0x0
	s_or_b32 exec_lo, exec_lo, s13
	s_add_co_i32 s2, s2, 0x10000
	s_delay_alu instid0(SALU_CYCLE_1)
	s_cmp_lt_u32 s2, s33
	s_cbranch_scc0 .LBB25_9
.LBB25_4:                               ; =>This Inner Loop Header: Depth=1
	s_and_saveexec_b32 s13, s4
	s_cbranch_execz .LBB25_3
; %bb.5:                                ;   in Loop: Header=BB25_4 Depth=1
	v_dual_mov_b32 v6, 0 :: v_dual_mov_b32 v8, 0
	v_mov_b32_e32 v9, 0
	s_and_not1_b32 vcc_lo, exec_lo, s5
	s_cbranch_vccnz .LBB25_7
; %bb.6:                                ;   in Loop: Header=BB25_4 Depth=1
	s_mul_u64 s[16:17], s[26:27], s[2:3]
	s_delay_alu instid0(SALU_CYCLE_1)
	v_lshl_add_u64 v[8:9], s[16:17], 3, v[2:3]
	global_load_b64 v[8:9], v[8:9], off
.LBB25_7:                               ;   in Loop: Header=BB25_4 Depth=1
	v_mov_b32_e32 v7, 0
	s_and_not1_b32 vcc_lo, exec_lo, s8
	s_cbranch_vccnz .LBB25_2
; %bb.8:                                ;   in Loop: Header=BB25_4 Depth=1
	s_mul_u64 s[16:17], s[10:11], s[2:3]
	s_delay_alu instid0(SALU_CYCLE_1)
	v_lshl_add_u64 v[6:7], s[16:17], 3, v[4:5]
	global_load_b64 v[6:7], v[6:7], off
	s_branch .LBB25_2
.LBB25_9:
	s_endpgm
	.section	.rodata,"a",@progbits
	.p2align	6, 0x0
	.amdhsa_kernel _ZL19rocblas_geam_deviceILi16ELi16E19rocblas_complex_numIfEPKS1_PS1_Ev18rocblas_operation_S5_iiT1_T2_lllS6_S7_lllT3_llli
		.amdhsa_group_segment_fixed_size 0
		.amdhsa_private_segment_fixed_size 0
		.amdhsa_kernarg_size 132
		.amdhsa_user_sgpr_count 2
		.amdhsa_user_sgpr_dispatch_ptr 0
		.amdhsa_user_sgpr_queue_ptr 0
		.amdhsa_user_sgpr_kernarg_segment_ptr 1
		.amdhsa_user_sgpr_dispatch_id 0
		.amdhsa_user_sgpr_kernarg_preload_length 0
		.amdhsa_user_sgpr_kernarg_preload_offset 0
		.amdhsa_user_sgpr_private_segment_size 0
		.amdhsa_wavefront_size32 1
		.amdhsa_uses_dynamic_stack 0
		.amdhsa_enable_private_segment 0
		.amdhsa_system_sgpr_workgroup_id_x 1
		.amdhsa_system_sgpr_workgroup_id_y 0
		.amdhsa_system_sgpr_workgroup_id_z 1
		.amdhsa_system_sgpr_workgroup_info 0
		.amdhsa_system_vgpr_workitem_id 1
		.amdhsa_next_free_vgpr 22
		.amdhsa_next_free_sgpr 45
		.amdhsa_named_barrier_count 0
		.amdhsa_reserve_vcc 1
		.amdhsa_float_round_mode_32 0
		.amdhsa_float_round_mode_16_64 0
		.amdhsa_float_denorm_mode_32 3
		.amdhsa_float_denorm_mode_16_64 3
		.amdhsa_fp16_overflow 0
		.amdhsa_memory_ordered 1
		.amdhsa_forward_progress 1
		.amdhsa_inst_pref_size 8
		.amdhsa_round_robin_scheduling 0
		.amdhsa_exception_fp_ieee_invalid_op 0
		.amdhsa_exception_fp_denorm_src 0
		.amdhsa_exception_fp_ieee_div_zero 0
		.amdhsa_exception_fp_ieee_overflow 0
		.amdhsa_exception_fp_ieee_underflow 0
		.amdhsa_exception_fp_ieee_inexact 0
		.amdhsa_exception_int_div_zero 0
	.end_amdhsa_kernel
	.section	.text._ZL19rocblas_geam_deviceILi16ELi16E19rocblas_complex_numIfEPKS1_PS1_Ev18rocblas_operation_S5_iiT1_T2_lllS6_S7_lllT3_llli,"axG",@progbits,_ZL19rocblas_geam_deviceILi16ELi16E19rocblas_complex_numIfEPKS1_PS1_Ev18rocblas_operation_S5_iiT1_T2_lllS6_S7_lllT3_llli,comdat
.Lfunc_end25:
	.size	_ZL19rocblas_geam_deviceILi16ELi16E19rocblas_complex_numIfEPKS1_PS1_Ev18rocblas_operation_S5_iiT1_T2_lllS6_S7_lllT3_llli, .Lfunc_end25-_ZL19rocblas_geam_deviceILi16ELi16E19rocblas_complex_numIfEPKS1_PS1_Ev18rocblas_operation_S5_iiT1_T2_lllS6_S7_lllT3_llli
                                        ; -- End function
	.set _ZL19rocblas_geam_deviceILi16ELi16E19rocblas_complex_numIfEPKS1_PS1_Ev18rocblas_operation_S5_iiT1_T2_lllS6_S7_lllT3_llli.num_vgpr, 22
	.set _ZL19rocblas_geam_deviceILi16ELi16E19rocblas_complex_numIfEPKS1_PS1_Ev18rocblas_operation_S5_iiT1_T2_lllS6_S7_lllT3_llli.num_agpr, 0
	.set _ZL19rocblas_geam_deviceILi16ELi16E19rocblas_complex_numIfEPKS1_PS1_Ev18rocblas_operation_S5_iiT1_T2_lllS6_S7_lllT3_llli.numbered_sgpr, 45
	.set _ZL19rocblas_geam_deviceILi16ELi16E19rocblas_complex_numIfEPKS1_PS1_Ev18rocblas_operation_S5_iiT1_T2_lllS6_S7_lllT3_llli.num_named_barrier, 0
	.set _ZL19rocblas_geam_deviceILi16ELi16E19rocblas_complex_numIfEPKS1_PS1_Ev18rocblas_operation_S5_iiT1_T2_lllS6_S7_lllT3_llli.private_seg_size, 0
	.set _ZL19rocblas_geam_deviceILi16ELi16E19rocblas_complex_numIfEPKS1_PS1_Ev18rocblas_operation_S5_iiT1_T2_lllS6_S7_lllT3_llli.uses_vcc, 1
	.set _ZL19rocblas_geam_deviceILi16ELi16E19rocblas_complex_numIfEPKS1_PS1_Ev18rocblas_operation_S5_iiT1_T2_lllS6_S7_lllT3_llli.uses_flat_scratch, 0
	.set _ZL19rocblas_geam_deviceILi16ELi16E19rocblas_complex_numIfEPKS1_PS1_Ev18rocblas_operation_S5_iiT1_T2_lllS6_S7_lllT3_llli.has_dyn_sized_stack, 0
	.set _ZL19rocblas_geam_deviceILi16ELi16E19rocblas_complex_numIfEPKS1_PS1_Ev18rocblas_operation_S5_iiT1_T2_lllS6_S7_lllT3_llli.has_recursion, 0
	.set _ZL19rocblas_geam_deviceILi16ELi16E19rocblas_complex_numIfEPKS1_PS1_Ev18rocblas_operation_S5_iiT1_T2_lllS6_S7_lllT3_llli.has_indirect_call, 0
	.section	.AMDGPU.csdata,"",@progbits
; Kernel info:
; codeLenInByte = 940
; TotalNumSgprs: 47
; NumVgprs: 22
; ScratchSize: 0
; MemoryBound: 0
; FloatMode: 240
; IeeeMode: 1
; LDSByteSize: 0 bytes/workgroup (compile time only)
; SGPRBlocks: 0
; VGPRBlocks: 1
; NumSGPRsForWavesPerEU: 47
; NumVGPRsForWavesPerEU: 22
; NamedBarCnt: 0
; Occupancy: 16
; WaveLimiterHint : 0
; COMPUTE_PGM_RSRC2:SCRATCH_EN: 0
; COMPUTE_PGM_RSRC2:USER_SGPR: 2
; COMPUTE_PGM_RSRC2:TRAP_HANDLER: 0
; COMPUTE_PGM_RSRC2:TGID_X_EN: 1
; COMPUTE_PGM_RSRC2:TGID_Y_EN: 0
; COMPUTE_PGM_RSRC2:TGID_Z_EN: 1
; COMPUTE_PGM_RSRC2:TIDIG_COMP_CNT: 1
	.section	.text._ZL19rocblas_geam_deviceILi16ELi16EPK19rocblas_complex_numIfES3_PS1_Ev18rocblas_operation_S5_iiT1_T2_lllS6_S7_lllT3_llli,"axG",@progbits,_ZL19rocblas_geam_deviceILi16ELi16EPK19rocblas_complex_numIfES3_PS1_Ev18rocblas_operation_S5_iiT1_T2_lllS6_S7_lllT3_llli,comdat
	.globl	_ZL19rocblas_geam_deviceILi16ELi16EPK19rocblas_complex_numIfES3_PS1_Ev18rocblas_operation_S5_iiT1_T2_lllS6_S7_lllT3_llli ; -- Begin function _ZL19rocblas_geam_deviceILi16ELi16EPK19rocblas_complex_numIfES3_PS1_Ev18rocblas_operation_S5_iiT1_T2_lllS6_S7_lllT3_llli
	.p2align	8
	.type	_ZL19rocblas_geam_deviceILi16ELi16EPK19rocblas_complex_numIfES3_PS1_Ev18rocblas_operation_S5_iiT1_T2_lllS6_S7_lllT3_llli,@function
_ZL19rocblas_geam_deviceILi16ELi16EPK19rocblas_complex_numIfES3_PS1_Ev18rocblas_operation_S5_iiT1_T2_lllS6_S7_lllT3_llli: ; @_ZL19rocblas_geam_deviceILi16ELi16EPK19rocblas_complex_numIfES3_PS1_Ev18rocblas_operation_S5_iiT1_T2_lllS6_S7_lllT3_llli
; %bb.0:
	s_load_b32 s33, s[0:1], 0x80
	s_bfe_u32 s2, ttmp6, 0x40014
	s_lshr_b32 s3, ttmp7, 16
	s_add_co_i32 s2, s2, 1
	s_bfe_u32 s5, ttmp6, 0x40008
	s_mul_i32 s4, s3, s2
	s_getreg_b32 s2, hwreg(HW_REG_IB_STS2, 6, 4)
	s_add_co_i32 s5, s5, s4
	s_cmp_eq_u32 s2, 0
	s_mov_b32 s35, 0
	s_cselect_b32 s34, s3, s5
	s_wait_kmcnt 0x0
	s_cmp_ge_u32 s34, s33
	s_cbranch_scc1 .LBB26_9
; %bb.1:
	s_load_b128 s[28:31], s[0:1], 0x0
	s_bfe_u32 s38, ttmp6, 0x4000c
	s_and_b32 s39, ttmp6, 15
	s_add_co_i32 s38, s38, 1
	v_and_b32_e32 v2, 0x3ff, v0
	s_mul_i32 s38, ttmp9, s38
	v_mov_b32_e32 v14, 0
	s_add_co_i32 s39, s39, s38
	s_wait_kmcnt 0x0
	s_add_co_i32 s3, s30, -1
	s_delay_alu instid0(SALU_CYCLE_1) | instskip(NEXT) | instid1(SALU_CYCLE_1)
	s_ashr_i32 s4, s3, 31
	s_lshr_b32 s4, s4, 28
	s_delay_alu instid0(SALU_CYCLE_1) | instskip(SKIP_2) | instid1(SALU_CYCLE_1)
	s_add_co_i32 s3, s3, s4
	s_load_b512 s[4:19], s[0:1], 0x10
	s_ashr_i32 s3, s3, 4
	s_add_co_i32 s36, s3, 1
	s_not_b32 s3, s3
	s_cvt_f32_u32 s20, s36
	s_delay_alu instid0(SALU_CYCLE_3) | instskip(SKIP_2) | instid1(TRANS32_DEP_1)
	v_rcp_iflag_f32_e32 v1, s20
	s_load_b256 s[20:27], s[0:1], 0x50
	v_nop
	v_readfirstlane_b32 s37, v1
	v_bfe_u32 v1, v0, 10, 10
	s_wait_kmcnt 0x0
	s_lshl_b64 s[18:19], s[18:19], 3
	s_mul_f32 s37, s37, 0x4f7ffffe
	s_lshl_b64 s[8:9], s[8:9], 3
	s_delay_alu instid0(SALU_CYCLE_1) | instskip(NEXT) | instid1(SALU_CYCLE_1)
	s_add_nc_u64 s[6:7], s[6:7], s[8:9]
	s_cvt_u32_f32 s37, s37
	s_delay_alu instid0(SALU_CYCLE_3) | instskip(SKIP_2) | instid1(SALU_CYCLE_1)
	s_mul_i32 s3, s3, s37
	s_lshl_b64 s[26:27], s[26:27], 3
	s_mul_hi_u32 s3, s37, s3
	s_add_co_i32 s37, s37, s3
	s_cmp_eq_u32 s2, 0
	s_load_b128 s[0:3], s[0:1], 0x70
	s_cselect_b32 s38, ttmp9, s39
	s_delay_alu instid0(SALU_CYCLE_1) | instskip(NEXT) | instid1(SALU_CYCLE_1)
	s_mul_hi_u32 s37, s38, s37
	s_mul_i32 s39, s37, s36
	s_add_co_i32 s40, s37, 1
	s_sub_co_i32 s39, s38, s39
	s_delay_alu instid0(SALU_CYCLE_1)
	s_sub_co_i32 s41, s39, s36
	s_cmp_ge_u32 s39, s36
	s_cselect_b32 s37, s40, s37
	s_cselect_b32 s39, s41, s39
	s_add_co_i32 s40, s37, 1
	s_cmp_ge_u32 s39, s36
	s_cselect_b32 s37, s40, s37
	s_delay_alu instid0(SALU_CYCLE_1) | instskip(SKIP_2) | instid1(SALU_CYCLE_1)
	s_mul_i32 s36, s37, s36
	v_lshl_add_u32 v0, s37, 4, v1
	s_sub_co_i32 s36, s38, s36
	v_lshl_add_u32 v2, s36, 4, v2
	s_delay_alu instid0(VALU_DEP_2) | instskip(SKIP_1) | instid1(VALU_DEP_3)
	v_ashrrev_i32_e32 v1, 31, v0
	v_cmp_gt_i32_e32 vcc_lo, s31, v0
	v_ashrrev_i32_e32 v3, 31, v2
	s_delay_alu instid0(VALU_DEP_3)
	v_mad_nc_u64_u32 v[6:7], s10, v2, v[0:1]
	v_mad_nc_u64_u32 v[8:9], s20, v2, v[0:1]
	s_wait_kmcnt 0x0
	v_mul_u64_e32 v[4:5], s[0:1], v[0:1]
	v_mad_nc_u64_u32 v[10:11], s20, v0, v[2:3]
	v_mad_nc_u64_u32 v[12:13], s10, v0, v[2:3]
	v_cmp_gt_i32_e64 s0, s30, v2
	s_and_b32 s1, s0, vcc_lo
	v_mad_u32 v7, s11, v2, v7
	v_mad_u32 v9, s21, v2, v9
	s_cmp_eq_u32 s28, 0x6f
	v_mad_u32 v11, s21, v0, v11
	v_mad_u32 v13, s11, v0, v13
	s_cselect_b32 vcc_lo, -1, 0
	s_cmp_eq_u32 s29, 0x6f
	s_cselect_b32 s0, -1, 0
	v_cndmask_b32_e32 v6, v6, v12, vcc_lo
	s_cmp_eq_u32 s28, 0x71
	v_mad_u32 v7, s10, v3, v7
	v_mad_u32 v9, s20, v3, v9
	;; [unrolled: 1-line block ×4, first 2 shown]
	s_add_nc_u64 s[10:11], s[16:17], s[18:19]
	s_add_nc_u64 s[16:17], s[24:25], s[26:27]
	s_delay_alu instid0(SALU_CYCLE_1) | instskip(NEXT) | instid1(VALU_DEP_3)
	v_lshl_add_u64 v[0:1], v[4:5], 3, s[16:17]
	v_dual_cndmask_b32 v4, v8, v10, s0 :: v_dual_cndmask_b32 v5, v9, v11, s0
	s_delay_alu instid0(VALU_DEP_3) | instskip(SKIP_1) | instid1(VALU_DEP_3)
	v_cndmask_b32_e32 v7, v7, v13, vcc_lo
	s_cselect_b32 s0, -1, 0
	v_lshl_add_u64 v[0:1], v[2:3], 3, v[0:1]
	s_cmp_eq_u32 s29, 0x71
	v_lshl_add_u64 v[4:5], v[4:5], 3, s[10:11]
	v_lshl_add_u64 v[2:3], v[6:7], 3, s[6:7]
	s_cselect_b32 s6, -1, 0
	s_branch .LBB26_4
.LBB26_2:                               ;   in Loop: Header=BB26_4 Depth=1
	s_wait_loadcnt 0x0
	s_delay_alu instid0(VALU_DEP_1) | instskip(SKIP_1) | instid1(VALU_DEP_1)
	v_dual_cndmask_b32 v16, v11, -v11, s6 :: v_dual_cndmask_b32 v18, v13, -v13, s0
	s_mul_u64 s[8:9], s[2:3], s[34:35]
	v_pk_mul_f32 v[16:17], v[16:17], v[8:9] op_sel:[0,1] op_sel_hi:[0,0]
	s_delay_alu instid0(VALU_DEP_2) | instskip(NEXT) | instid1(VALU_DEP_2)
	v_pk_mul_f32 v[18:19], v[18:19], v[6:7] op_sel:[0,1] op_sel_hi:[0,0]
	v_pk_fma_f32 v[20:21], v[10:11], v[8:9], v[16:17] op_sel_hi:[0,1,1]
	s_delay_alu instid0(VALU_DEP_2)
	v_pk_fma_f32 v[22:23], v[12:13], v[6:7], v[18:19] op_sel_hi:[0,1,1]
	v_pk_fma_f32 v[8:9], v[10:11], v[8:9], v[16:17] neg_lo:[0,0,1] neg_hi:[0,0,1]
	v_pk_fma_f32 v[6:7], v[12:13], v[6:7], v[18:19] neg_lo:[0,0,1] neg_hi:[0,0,1]
	s_wait_xcnt 0x0
	v_lshl_add_u64 v[10:11], s[8:9], 3, v[0:1]
	v_dual_mov_b32 v9, v21 :: v_dual_mov_b32 v7, v23
	s_delay_alu instid0(VALU_DEP_1)
	v_pk_add_f32 v[6:7], v[6:7], v[8:9]
	global_store_b64 v[10:11], v[6:7], off
.LBB26_3:                               ;   in Loop: Header=BB26_4 Depth=1
	s_wait_xcnt 0x0
	s_or_b32 exec_lo, exec_lo, s7
	s_add_co_i32 s34, s34, 0x10000
	s_delay_alu instid0(SALU_CYCLE_1)
	s_cmp_lt_u32 s34, s33
	s_cbranch_scc0 .LBB26_9
.LBB26_4:                               ; =>This Inner Loop Header: Depth=1
	s_and_saveexec_b32 s7, s1
	s_cbranch_execz .LBB26_3
; %bb.5:                                ;   in Loop: Header=BB26_4 Depth=1
	s_clause 0x1
	global_load_b64 v[6:7], v14, s[4:5]
	global_load_b64 v[8:9], v14, s[14:15]
	v_dual_mov_b32 v12, 0 :: v_dual_mov_b32 v13, 0
	s_wait_loadcnt 0x1
	v_or_b32_e32 v10, v6, v7
	s_delay_alu instid0(VALU_DEP_1) | instskip(NEXT) | instid1(VALU_DEP_1)
	v_and_b32_e32 v10, 0x7fffffff, v10
	v_cmp_eq_u32_e32 vcc_lo, 0, v10
	v_mov_b32_e32 v10, 0
	s_cbranch_vccnz .LBB26_7
; %bb.6:                                ;   in Loop: Header=BB26_4 Depth=1
	s_mul_u64 s[8:9], s[12:13], s[34:35]
	s_delay_alu instid0(SALU_CYCLE_1)
	v_lshl_add_u64 v[12:13], s[8:9], 3, v[2:3]
	global_load_b64 v[12:13], v[12:13], off
.LBB26_7:                               ;   in Loop: Header=BB26_4 Depth=1
	s_wait_loadcnt 0x0
	v_or_b32_e32 v11, v8, v9
	s_delay_alu instid0(VALU_DEP_1) | instskip(NEXT) | instid1(VALU_DEP_1)
	v_and_b32_e32 v11, 0x7fffffff, v11
	v_cmp_eq_u32_e32 vcc_lo, 0, v11
	v_mov_b32_e32 v11, 0
	s_cbranch_vccnz .LBB26_2
; %bb.8:                                ;   in Loop: Header=BB26_4 Depth=1
	s_mul_u64 s[8:9], s[22:23], s[34:35]
	s_delay_alu instid0(SALU_CYCLE_1)
	v_lshl_add_u64 v[10:11], s[8:9], 3, v[4:5]
	global_load_b64 v[10:11], v[10:11], off
	s_branch .LBB26_2
.LBB26_9:
	s_endpgm
	.section	.rodata,"a",@progbits
	.p2align	6, 0x0
	.amdhsa_kernel _ZL19rocblas_geam_deviceILi16ELi16EPK19rocblas_complex_numIfES3_PS1_Ev18rocblas_operation_S5_iiT1_T2_lllS6_S7_lllT3_llli
		.amdhsa_group_segment_fixed_size 0
		.amdhsa_private_segment_fixed_size 0
		.amdhsa_kernarg_size 132
		.amdhsa_user_sgpr_count 2
		.amdhsa_user_sgpr_dispatch_ptr 0
		.amdhsa_user_sgpr_queue_ptr 0
		.amdhsa_user_sgpr_kernarg_segment_ptr 1
		.amdhsa_user_sgpr_dispatch_id 0
		.amdhsa_user_sgpr_kernarg_preload_length 0
		.amdhsa_user_sgpr_kernarg_preload_offset 0
		.amdhsa_user_sgpr_private_segment_size 0
		.amdhsa_wavefront_size32 1
		.amdhsa_uses_dynamic_stack 0
		.amdhsa_enable_private_segment 0
		.amdhsa_system_sgpr_workgroup_id_x 1
		.amdhsa_system_sgpr_workgroup_id_y 0
		.amdhsa_system_sgpr_workgroup_id_z 1
		.amdhsa_system_sgpr_workgroup_info 0
		.amdhsa_system_vgpr_workitem_id 1
		.amdhsa_next_free_vgpr 24
		.amdhsa_next_free_sgpr 42
		.amdhsa_named_barrier_count 0
		.amdhsa_reserve_vcc 1
		.amdhsa_float_round_mode_32 0
		.amdhsa_float_round_mode_16_64 0
		.amdhsa_float_denorm_mode_32 3
		.amdhsa_float_denorm_mode_16_64 3
		.amdhsa_fp16_overflow 0
		.amdhsa_memory_ordered 1
		.amdhsa_forward_progress 1
		.amdhsa_inst_pref_size 8
		.amdhsa_round_robin_scheduling 0
		.amdhsa_exception_fp_ieee_invalid_op 0
		.amdhsa_exception_fp_denorm_src 0
		.amdhsa_exception_fp_ieee_div_zero 0
		.amdhsa_exception_fp_ieee_overflow 0
		.amdhsa_exception_fp_ieee_underflow 0
		.amdhsa_exception_fp_ieee_inexact 0
		.amdhsa_exception_int_div_zero 0
	.end_amdhsa_kernel
	.section	.text._ZL19rocblas_geam_deviceILi16ELi16EPK19rocblas_complex_numIfES3_PS1_Ev18rocblas_operation_S5_iiT1_T2_lllS6_S7_lllT3_llli,"axG",@progbits,_ZL19rocblas_geam_deviceILi16ELi16EPK19rocblas_complex_numIfES3_PS1_Ev18rocblas_operation_S5_iiT1_T2_lllS6_S7_lllT3_llli,comdat
.Lfunc_end26:
	.size	_ZL19rocblas_geam_deviceILi16ELi16EPK19rocblas_complex_numIfES3_PS1_Ev18rocblas_operation_S5_iiT1_T2_lllS6_S7_lllT3_llli, .Lfunc_end26-_ZL19rocblas_geam_deviceILi16ELi16EPK19rocblas_complex_numIfES3_PS1_Ev18rocblas_operation_S5_iiT1_T2_lllS6_S7_lllT3_llli
                                        ; -- End function
	.set _ZL19rocblas_geam_deviceILi16ELi16EPK19rocblas_complex_numIfES3_PS1_Ev18rocblas_operation_S5_iiT1_T2_lllS6_S7_lllT3_llli.num_vgpr, 24
	.set _ZL19rocblas_geam_deviceILi16ELi16EPK19rocblas_complex_numIfES3_PS1_Ev18rocblas_operation_S5_iiT1_T2_lllS6_S7_lllT3_llli.num_agpr, 0
	.set _ZL19rocblas_geam_deviceILi16ELi16EPK19rocblas_complex_numIfES3_PS1_Ev18rocblas_operation_S5_iiT1_T2_lllS6_S7_lllT3_llli.numbered_sgpr, 42
	.set _ZL19rocblas_geam_deviceILi16ELi16EPK19rocblas_complex_numIfES3_PS1_Ev18rocblas_operation_S5_iiT1_T2_lllS6_S7_lllT3_llli.num_named_barrier, 0
	.set _ZL19rocblas_geam_deviceILi16ELi16EPK19rocblas_complex_numIfES3_PS1_Ev18rocblas_operation_S5_iiT1_T2_lllS6_S7_lllT3_llli.private_seg_size, 0
	.set _ZL19rocblas_geam_deviceILi16ELi16EPK19rocblas_complex_numIfES3_PS1_Ev18rocblas_operation_S5_iiT1_T2_lllS6_S7_lllT3_llli.uses_vcc, 1
	.set _ZL19rocblas_geam_deviceILi16ELi16EPK19rocblas_complex_numIfES3_PS1_Ev18rocblas_operation_S5_iiT1_T2_lllS6_S7_lllT3_llli.uses_flat_scratch, 0
	.set _ZL19rocblas_geam_deviceILi16ELi16EPK19rocblas_complex_numIfES3_PS1_Ev18rocblas_operation_S5_iiT1_T2_lllS6_S7_lllT3_llli.has_dyn_sized_stack, 0
	.set _ZL19rocblas_geam_deviceILi16ELi16EPK19rocblas_complex_numIfES3_PS1_Ev18rocblas_operation_S5_iiT1_T2_lllS6_S7_lllT3_llli.has_recursion, 0
	.set _ZL19rocblas_geam_deviceILi16ELi16EPK19rocblas_complex_numIfES3_PS1_Ev18rocblas_operation_S5_iiT1_T2_lllS6_S7_lllT3_llli.has_indirect_call, 0
	.section	.AMDGPU.csdata,"",@progbits
; Kernel info:
; codeLenInByte = 928
; TotalNumSgprs: 44
; NumVgprs: 24
; ScratchSize: 0
; MemoryBound: 0
; FloatMode: 240
; IeeeMode: 1
; LDSByteSize: 0 bytes/workgroup (compile time only)
; SGPRBlocks: 0
; VGPRBlocks: 1
; NumSGPRsForWavesPerEU: 44
; NumVGPRsForWavesPerEU: 24
; NamedBarCnt: 0
; Occupancy: 16
; WaveLimiterHint : 0
; COMPUTE_PGM_RSRC2:SCRATCH_EN: 0
; COMPUTE_PGM_RSRC2:USER_SGPR: 2
; COMPUTE_PGM_RSRC2:TRAP_HANDLER: 0
; COMPUTE_PGM_RSRC2:TGID_X_EN: 1
; COMPUTE_PGM_RSRC2:TGID_Y_EN: 0
; COMPUTE_PGM_RSRC2:TGID_Z_EN: 1
; COMPUTE_PGM_RSRC2:TIDIG_COMP_CNT: 1
	.section	.text._ZL31rocblas_geam_zero_matrix_deviceILi16ELi16EP19rocblas_complex_numIdEEviiT1_llli,"axG",@progbits,_ZL31rocblas_geam_zero_matrix_deviceILi16ELi16EP19rocblas_complex_numIdEEviiT1_llli,comdat
	.globl	_ZL31rocblas_geam_zero_matrix_deviceILi16ELi16EP19rocblas_complex_numIdEEviiT1_llli ; -- Begin function _ZL31rocblas_geam_zero_matrix_deviceILi16ELi16EP19rocblas_complex_numIdEEviiT1_llli
	.p2align	8
	.type	_ZL31rocblas_geam_zero_matrix_deviceILi16ELi16EP19rocblas_complex_numIdEEviiT1_llli,@function
_ZL31rocblas_geam_zero_matrix_deviceILi16ELi16EP19rocblas_complex_numIdEEviiT1_llli: ; @_ZL31rocblas_geam_zero_matrix_deviceILi16ELi16EP19rocblas_complex_numIdEEviiT1_llli
; %bb.0:
	s_load_b32 s12, s[0:1], 0x28
	s_bfe_u32 s2, ttmp6, 0x40014
	s_lshr_b32 s3, ttmp7, 16
	s_add_co_i32 s2, s2, 1
	s_bfe_u32 s4, ttmp6, 0x40008
	s_mul_i32 s2, s3, s2
	s_getreg_b32 s13, hwreg(HW_REG_IB_STS2, 6, 4)
	s_add_co_i32 s4, s4, s2
	s_cmp_eq_u32 s13, 0
	s_cselect_b32 s2, s3, s4
	s_mov_b32 s3, 0
	s_wait_kmcnt 0x0
	s_cmp_ge_u32 s2, s12
	s_cbranch_scc1 .LBB27_5
; %bb.1:
	s_load_b64 s[14:15], s[0:1], 0x0
	s_bfe_u32 s18, ttmp6, 0x4000c
	s_delay_alu instid0(SALU_CYCLE_1) | instskip(SKIP_2) | instid1(SALU_CYCLE_1)
	s_add_co_i32 s18, s18, 1
	s_wait_kmcnt 0x0
	s_add_co_i32 s4, s14, -1
	s_ashr_i32 s5, s4, 31
	s_delay_alu instid0(SALU_CYCLE_1) | instskip(NEXT) | instid1(SALU_CYCLE_1)
	s_lshr_b32 s5, s5, 28
	s_add_co_i32 s4, s4, s5
	s_delay_alu instid0(SALU_CYCLE_1) | instskip(NEXT) | instid1(SALU_CYCLE_1)
	s_ashr_i32 s16, s4, 4
	s_add_co_i32 s17, s16, 1
	s_delay_alu instid0(SALU_CYCLE_1) | instskip(NEXT) | instid1(SALU_CYCLE_3)
	s_cvt_f32_u32 s4, s17
	v_rcp_iflag_f32_e32 v1, s4
	s_load_b256 s[4:11], s[0:1], 0x8
	s_wait_xcnt 0x0
	s_and_b32 s1, ttmp6, 15
	v_nop
	s_delay_alu instid0(TRANS32_DEP_1) | instskip(SKIP_3) | instid1(SALU_CYCLE_3)
	v_readfirstlane_b32 s0, v1
	v_bfe_u32 v1, v0, 10, 10
	v_and_b32_e32 v0, 0x3ff, v0
	s_mul_f32 s0, s0, 0x4f7ffffe
	s_cvt_u32_f32 s19, s0
	s_not_b32 s0, s16
	s_mul_i32 s16, ttmp9, s18
	s_delay_alu instid0(SALU_CYCLE_1) | instskip(SKIP_1) | instid1(SALU_CYCLE_1)
	s_add_co_i32 s16, s1, s16
	s_mul_i32 s0, s0, s19
	s_mul_hi_u32 s18, s19, s0
	s_wait_kmcnt 0x0
	s_lshl_b64 s[0:1], s[6:7], 4
	s_add_co_i32 s19, s19, s18
	s_cmp_eq_u32 s13, 0
	s_add_nc_u64 s[0:1], s[4:5], s[0:1]
	s_cselect_b32 s6, ttmp9, s16
	s_delay_alu instid0(SALU_CYCLE_1) | instskip(NEXT) | instid1(SALU_CYCLE_1)
	s_mul_hi_u32 s7, s6, s19
	s_mul_i32 s13, s7, s17
	s_add_co_i32 s16, s7, 1
	s_sub_co_i32 s13, s6, s13
	s_delay_alu instid0(SALU_CYCLE_1)
	s_sub_co_i32 s18, s13, s17
	s_cmp_ge_u32 s13, s17
	s_cselect_b32 s7, s16, s7
	s_cselect_b32 s13, s18, s13
	s_add_co_i32 s16, s7, 1
	s_cmp_ge_u32 s13, s17
	s_cselect_b32 s7, s16, s7
	s_delay_alu instid0(SALU_CYCLE_1) | instskip(SKIP_1) | instid1(SALU_CYCLE_1)
	v_lshl_add_u32 v2, s7, 4, v1
	s_mul_i32 s7, s7, s17
	s_sub_co_i32 s6, s6, s7
	s_delay_alu instid0(SALU_CYCLE_1) | instskip(NEXT) | instid1(VALU_DEP_2)
	v_lshl_add_u32 v0, s6, 4, v0
	v_ashrrev_i32_e32 v3, 31, v2
	v_cmp_gt_i32_e32 vcc_lo, s15, v2
	s_delay_alu instid0(VALU_DEP_3) | instskip(NEXT) | instid1(VALU_DEP_3)
	v_ashrrev_i32_e32 v1, 31, v0
	v_mul_u64_e32 v[4:5], s[8:9], v[2:3]
	s_delay_alu instid0(VALU_DEP_1) | instskip(SKIP_1) | instid1(VALU_DEP_2)
	v_lshl_add_u64 v[4:5], v[4:5], 4, s[0:1]
	v_cmp_gt_i32_e64 s0, s14, v0
	v_lshl_add_u64 v[4:5], v[0:1], 4, v[4:5]
	v_mov_b32_e32 v0, 0
	s_and_b32 s0, s0, vcc_lo
	s_branch .LBB27_3
.LBB27_2:                               ;   in Loop: Header=BB27_3 Depth=1
	s_wait_xcnt 0x0
	s_or_b32 exec_lo, exec_lo, s1
	s_add_co_i32 s2, s2, 0x10000
	s_delay_alu instid0(SALU_CYCLE_1)
	s_cmp_lt_u32 s2, s12
	s_cbranch_scc0 .LBB27_5
.LBB27_3:                               ; =>This Inner Loop Header: Depth=1
	s_and_saveexec_b32 s1, s0
	s_cbranch_execz .LBB27_2
; %bb.4:                                ;   in Loop: Header=BB27_3 Depth=1
	s_mul_u64 s[4:5], s[10:11], s[2:3]
	v_dual_mov_b32 v1, v0 :: v_dual_mov_b32 v2, v0
	v_lshl_add_u64 v[6:7], s[4:5], 4, v[4:5]
	v_mov_b32_e32 v3, v0
	global_store_b128 v[6:7], v[0:3], off
	s_branch .LBB27_2
.LBB27_5:
	s_endpgm
	.section	.rodata,"a",@progbits
	.p2align	6, 0x0
	.amdhsa_kernel _ZL31rocblas_geam_zero_matrix_deviceILi16ELi16EP19rocblas_complex_numIdEEviiT1_llli
		.amdhsa_group_segment_fixed_size 0
		.amdhsa_private_segment_fixed_size 0
		.amdhsa_kernarg_size 44
		.amdhsa_user_sgpr_count 2
		.amdhsa_user_sgpr_dispatch_ptr 0
		.amdhsa_user_sgpr_queue_ptr 0
		.amdhsa_user_sgpr_kernarg_segment_ptr 1
		.amdhsa_user_sgpr_dispatch_id 0
		.amdhsa_user_sgpr_kernarg_preload_length 0
		.amdhsa_user_sgpr_kernarg_preload_offset 0
		.amdhsa_user_sgpr_private_segment_size 0
		.amdhsa_wavefront_size32 1
		.amdhsa_uses_dynamic_stack 0
		.amdhsa_enable_private_segment 0
		.amdhsa_system_sgpr_workgroup_id_x 1
		.amdhsa_system_sgpr_workgroup_id_y 0
		.amdhsa_system_sgpr_workgroup_id_z 1
		.amdhsa_system_sgpr_workgroup_info 0
		.amdhsa_system_vgpr_workitem_id 1
		.amdhsa_next_free_vgpr 8
		.amdhsa_next_free_sgpr 20
		.amdhsa_named_barrier_count 0
		.amdhsa_reserve_vcc 1
		.amdhsa_float_round_mode_32 0
		.amdhsa_float_round_mode_16_64 0
		.amdhsa_float_denorm_mode_32 3
		.amdhsa_float_denorm_mode_16_64 3
		.amdhsa_fp16_overflow 0
		.amdhsa_memory_ordered 1
		.amdhsa_forward_progress 1
		.amdhsa_inst_pref_size 4
		.amdhsa_round_robin_scheduling 0
		.amdhsa_exception_fp_ieee_invalid_op 0
		.amdhsa_exception_fp_denorm_src 0
		.amdhsa_exception_fp_ieee_div_zero 0
		.amdhsa_exception_fp_ieee_overflow 0
		.amdhsa_exception_fp_ieee_underflow 0
		.amdhsa_exception_fp_ieee_inexact 0
		.amdhsa_exception_int_div_zero 0
	.end_amdhsa_kernel
	.section	.text._ZL31rocblas_geam_zero_matrix_deviceILi16ELi16EP19rocblas_complex_numIdEEviiT1_llli,"axG",@progbits,_ZL31rocblas_geam_zero_matrix_deviceILi16ELi16EP19rocblas_complex_numIdEEviiT1_llli,comdat
.Lfunc_end27:
	.size	_ZL31rocblas_geam_zero_matrix_deviceILi16ELi16EP19rocblas_complex_numIdEEviiT1_llli, .Lfunc_end27-_ZL31rocblas_geam_zero_matrix_deviceILi16ELi16EP19rocblas_complex_numIdEEviiT1_llli
                                        ; -- End function
	.set _ZL31rocblas_geam_zero_matrix_deviceILi16ELi16EP19rocblas_complex_numIdEEviiT1_llli.num_vgpr, 8
	.set _ZL31rocblas_geam_zero_matrix_deviceILi16ELi16EP19rocblas_complex_numIdEEviiT1_llli.num_agpr, 0
	.set _ZL31rocblas_geam_zero_matrix_deviceILi16ELi16EP19rocblas_complex_numIdEEviiT1_llli.numbered_sgpr, 20
	.set _ZL31rocblas_geam_zero_matrix_deviceILi16ELi16EP19rocblas_complex_numIdEEviiT1_llli.num_named_barrier, 0
	.set _ZL31rocblas_geam_zero_matrix_deviceILi16ELi16EP19rocblas_complex_numIdEEviiT1_llli.private_seg_size, 0
	.set _ZL31rocblas_geam_zero_matrix_deviceILi16ELi16EP19rocblas_complex_numIdEEviiT1_llli.uses_vcc, 1
	.set _ZL31rocblas_geam_zero_matrix_deviceILi16ELi16EP19rocblas_complex_numIdEEviiT1_llli.uses_flat_scratch, 0
	.set _ZL31rocblas_geam_zero_matrix_deviceILi16ELi16EP19rocblas_complex_numIdEEviiT1_llli.has_dyn_sized_stack, 0
	.set _ZL31rocblas_geam_zero_matrix_deviceILi16ELi16EP19rocblas_complex_numIdEEviiT1_llli.has_recursion, 0
	.set _ZL31rocblas_geam_zero_matrix_deviceILi16ELi16EP19rocblas_complex_numIdEEviiT1_llli.has_indirect_call, 0
	.section	.AMDGPU.csdata,"",@progbits
; Kernel info:
; codeLenInByte = 468
; TotalNumSgprs: 22
; NumVgprs: 8
; ScratchSize: 0
; MemoryBound: 0
; FloatMode: 240
; IeeeMode: 1
; LDSByteSize: 0 bytes/workgroup (compile time only)
; SGPRBlocks: 0
; VGPRBlocks: 0
; NumSGPRsForWavesPerEU: 22
; NumVGPRsForWavesPerEU: 8
; NamedBarCnt: 0
; Occupancy: 16
; WaveLimiterHint : 0
; COMPUTE_PGM_RSRC2:SCRATCH_EN: 0
; COMPUTE_PGM_RSRC2:USER_SGPR: 2
; COMPUTE_PGM_RSRC2:TRAP_HANDLER: 0
; COMPUTE_PGM_RSRC2:TGID_X_EN: 1
; COMPUTE_PGM_RSRC2:TGID_Y_EN: 0
; COMPUTE_PGM_RSRC2:TGID_Z_EN: 1
; COMPUTE_PGM_RSRC2:TIDIG_COMP_CNT: 1
	.section	.text._ZL27rocblas_geam_inplace_deviceILi16ELi16E19rocblas_complex_numIdEPKS1_PS1_Ev18rocblas_operation_iiT1_S6_T2_lllT3_llli,"axG",@progbits,_ZL27rocblas_geam_inplace_deviceILi16ELi16E19rocblas_complex_numIdEPKS1_PS1_Ev18rocblas_operation_iiT1_S6_T2_lllT3_llli,comdat
	.globl	_ZL27rocblas_geam_inplace_deviceILi16ELi16E19rocblas_complex_numIdEPKS1_PS1_Ev18rocblas_operation_iiT1_S6_T2_lllT3_llli ; -- Begin function _ZL27rocblas_geam_inplace_deviceILi16ELi16E19rocblas_complex_numIdEPKS1_PS1_Ev18rocblas_operation_iiT1_S6_T2_lllT3_llli
	.p2align	8
	.type	_ZL27rocblas_geam_inplace_deviceILi16ELi16E19rocblas_complex_numIdEPKS1_PS1_Ev18rocblas_operation_iiT1_S6_T2_lllT3_llli,@function
_ZL27rocblas_geam_inplace_deviceILi16ELi16E19rocblas_complex_numIdEPKS1_PS1_Ev18rocblas_operation_iiT1_S6_T2_lllT3_llli: ; @_ZL27rocblas_geam_inplace_deviceILi16ELi16E19rocblas_complex_numIdEPKS1_PS1_Ev18rocblas_operation_iiT1_S6_T2_lllT3_llli
; %bb.0:
	s_load_b32 s31, s[0:1], 0x70
	s_bfe_u32 s2, ttmp6, 0x40014
	s_lshr_b32 s3, ttmp7, 16
	s_add_co_i32 s2, s2, 1
	s_bfe_u32 s4, ttmp6, 0x40008
	s_mul_i32 s2, s3, s2
	s_getreg_b32 s33, hwreg(HW_REG_IB_STS2, 6, 4)
	s_add_co_i32 s4, s4, s2
	s_cmp_eq_u32 s33, 0
	s_cselect_b32 s2, s3, s4
	s_mov_b32 s3, 0
	s_wait_kmcnt 0x0
	s_cmp_ge_u32 s2, s31
	s_cbranch_scc1 .LBB28_14
; %bb.1:
	s_load_b96 s[28:30], s[0:1], 0x0
	s_and_b32 s35, ttmp6, 15
	v_and_b32_e32 v2, 0x3ff, v0
	s_wait_kmcnt 0x0
	s_add_co_i32 s4, s29, -1
	s_delay_alu instid0(SALU_CYCLE_1) | instskip(NEXT) | instid1(SALU_CYCLE_1)
	s_ashr_i32 s5, s4, 31
	s_lshr_b32 s5, s5, 28
	s_delay_alu instid0(SALU_CYCLE_1) | instskip(NEXT) | instid1(SALU_CYCLE_1)
	s_add_co_i32 s4, s4, s5
	s_ashr_i32 s34, s4, 4
	s_delay_alu instid0(SALU_CYCLE_1) | instskip(SKIP_2) | instid1(SALU_CYCLE_3)
	s_add_co_i32 s36, s34, 1
	s_not_b32 s34, s34
	s_cvt_f32_u32 s4, s36
	v_rcp_iflag_f32_e32 v1, s4
	s_clause 0x1
	s_load_b256 s[20:27], s[0:1], 0x50
	s_load_b512 s[4:19], s[0:1], 0x10
	s_wait_xcnt 0x0
	s_bfe_u32 s1, ttmp6, 0x4000c
	s_delay_alu instid0(SALU_CYCLE_1) | instskip(NEXT) | instid1(SALU_CYCLE_1)
	s_add_co_i32 s1, s1, 1
	s_mul_i32 s1, ttmp9, s1
	v_nop
	v_readfirstlane_b32 s0, v1
	s_add_co_i32 s1, s35, s1
	v_bfe_u32 v1, v0, 10, 10
	s_mul_f32 s0, s0, 0x4f7ffffe
	s_delay_alu instid0(SALU_CYCLE_3) | instskip(SKIP_2) | instid1(SALU_CYCLE_1)
	s_cvt_u32_f32 s0, s0
	s_wait_kmcnt 0x0
	s_lshl_b64 s[22:23], s[22:23], 4
	s_mul_i32 s34, s34, s0
	s_delay_alu instid0(SALU_CYCLE_1)
	s_mul_hi_u32 s37, s0, s34
	s_lshl_b64 s[34:35], s[14:15], 4
	s_add_co_i32 s0, s0, s37
	s_cmp_eq_u32 s33, 0
	s_add_nc_u64 s[12:13], s[12:13], s[34:35]
	s_cselect_b32 s1, ttmp9, s1
	s_delay_alu instid0(SALU_CYCLE_1) | instskip(NEXT) | instid1(SALU_CYCLE_1)
	s_mul_hi_u32 s0, s1, s0
	s_mul_i32 s14, s0, s36
	s_add_co_i32 s15, s0, 1
	s_sub_co_i32 s14, s1, s14
	s_delay_alu instid0(SALU_CYCLE_1)
	s_sub_co_i32 s33, s14, s36
	s_cmp_ge_u32 s14, s36
	s_cselect_b32 s0, s15, s0
	s_cselect_b32 s14, s33, s14
	s_add_co_i32 s15, s0, 1
	s_cmp_ge_u32 s14, s36
	v_cmp_neq_f64_e64 s33, s[6:7], 0
	s_cselect_b32 s0, s15, s0
	v_cmp_neq_f64_e64 s15, s[4:5], 0
	s_mul_i32 s14, s0, s36
	v_lshl_add_u32 v0, s0, 4, v1
	s_sub_co_i32 s1, s1, s14
	v_cmp_neq_f64_e64 s14, s[10:11], 0
	v_lshl_add_u32 v2, s1, 4, v2
	v_cmp_neq_f64_e64 s1, s[8:9], 0
	v_ashrrev_i32_e32 v1, 31, v0
	v_cmp_gt_i32_e32 vcc_lo, s30, v0
	s_delay_alu instid0(VALU_DEP_4) | instskip(SKIP_1) | instid1(VALU_DEP_4)
	v_ashrrev_i32_e32 v3, 31, v2
	v_cmp_gt_i32_e64 s0, s29, v2
	v_mad_nc_u64_u32 v[6:7], s16, v2, v[0:1]
	s_delay_alu instid0(VALU_DEP_3) | instskip(SKIP_1) | instid1(VALU_DEP_3)
	v_mad_nc_u64_u32 v[8:9], s16, v0, v[2:3]
	v_mad_nc_u64_u32 v[4:5], s24, v0, v[2:3]
	v_mad_u32 v7, s17, v2, v7
	s_delay_alu instid0(VALU_DEP_3) | instskip(NEXT) | instid1(VALU_DEP_3)
	v_mad_u32 v9, s17, v0, v9
	v_mad_u32 v0, s25, v0, v5
	s_delay_alu instid0(VALU_DEP_3) | instskip(NEXT) | instid1(VALU_DEP_3)
	v_mad_u32 v3, s16, v3, v7
	v_mad_u32 v7, s16, v1, v9
	s_or_b32 s1, s1, s14
	s_and_b32 s14, s0, vcc_lo
	s_cmp_eq_u32 s28, 0x6f
	s_delay_alu instid0(VALU_DEP_3)
	v_mad_u32 v5, s24, v1, v0
	s_cselect_b32 vcc_lo, -1, 0
	s_cmp_eq_u32 s28, 0x71
	v_cndmask_b32_e32 v2, v6, v8, vcc_lo
	s_cselect_b32 s0, -1, 0
	s_or_b32 s15, s15, s33
	s_delay_alu instid0(VALU_DEP_3) | instskip(NEXT) | instid1(VALU_DEP_1)
	v_cndmask_b32_e32 v3, v3, v7, vcc_lo
	v_lshl_add_u64 v[6:7], v[2:3], 4, s[12:13]
	s_add_nc_u64 s[12:13], s[20:21], s[22:23]
	s_branch .LBB28_4
.LBB28_2:                               ;   in Loop: Header=BB28_4 Depth=1
	global_store_b128 v[8:9], v[0:3], off
.LBB28_3:                               ;   in Loop: Header=BB28_4 Depth=1
	s_wait_xcnt 0x0
	s_or_b32 exec_lo, exec_lo, s16
	s_add_co_i32 s2, s2, 0x10000
	s_delay_alu instid0(SALU_CYCLE_1)
	s_cmp_lt_u32 s2, s31
	s_cbranch_scc0 .LBB28_14
.LBB28_4:                               ; =>This Inner Loop Header: Depth=1
	s_and_saveexec_b32 s16, s14
	s_cbranch_execz .LBB28_3
; %bb.5:                                ;   in Loop: Header=BB28_4 Depth=1
	s_mul_u64 s[20:21], s[26:27], s[2:3]
	s_and_b32 vcc_lo, exec_lo, s1
	s_lshl_b64 s[20:21], s[20:21], 4
	s_mov_b32 s17, -1
	s_add_nc_u64 s[20:21], s[12:13], s[20:21]
	s_delay_alu instid0(SALU_CYCLE_1)
	v_lshl_add_u64 v[8:9], v[4:5], 4, s[20:21]
	s_cbranch_vccz .LBB28_11
; %bb.6:                                ;   in Loop: Header=BB28_4 Depth=1
	s_mul_u64 s[20:21], s[18:19], s[2:3]
	s_and_b32 vcc_lo, exec_lo, s15
	v_lshl_add_u64 v[0:1], s[20:21], 4, v[6:7]
	global_load_b128 v[10:13], v[0:1], off
	s_wait_loadcnt 0x0
	s_wait_xcnt 0x0
	v_xor_b32_e32 v0, 0x80000000, v13
	s_delay_alu instid0(VALU_DEP_1) | instskip(NEXT) | instid1(VALU_DEP_1)
	v_cndmask_b32_e64 v13, v13, v0, s0
	v_mul_f64_e32 v[0:1], s[10:11], v[12:13]
	s_delay_alu instid0(VALU_DEP_1) | instskip(SKIP_1) | instid1(VALU_DEP_1)
	v_fma_f64 v[0:1], s[8:9], v[10:11], -v[0:1]
	v_mul_f64_e32 v[2:3], s[8:9], v[12:13]
	v_fmac_f64_e32 v[2:3], s[10:11], v[10:11]
	s_cbranch_vccz .LBB28_8
; %bb.7:                                ;   in Loop: Header=BB28_4 Depth=1
	global_load_b128 v[10:13], v[8:9], off
	s_mov_b32 s17, 0
	s_wait_loadcnt 0x0
	v_mul_f64_e32 v[14:15], s[6:7], v[12:13]
	v_mul_f64_e32 v[12:13], s[4:5], v[12:13]
	s_delay_alu instid0(VALU_DEP_2) | instskip(NEXT) | instid1(VALU_DEP_2)
	v_fma_f64 v[14:15], s[4:5], v[10:11], -v[14:15]
	v_fmac_f64_e32 v[12:13], s[6:7], v[10:11]
	s_delay_alu instid0(VALU_DEP_2) | instskip(NEXT) | instid1(VALU_DEP_2)
	v_add_f64_e32 v[10:11], v[0:1], v[14:15]
	v_add_f64_e32 v[12:13], v[2:3], v[12:13]
	global_store_b128 v[8:9], v[10:13], off
.LBB28_8:                               ;   in Loop: Header=BB28_4 Depth=1
	s_and_not1_b32 vcc_lo, exec_lo, s17
	s_cbranch_vccnz .LBB28_10
; %bb.9:                                ;   in Loop: Header=BB28_4 Depth=1
	global_store_b128 v[8:9], v[0:3], off
.LBB28_10:                              ;   in Loop: Header=BB28_4 Depth=1
	s_mov_b32 s17, 0
.LBB28_11:                              ;   in Loop: Header=BB28_4 Depth=1
	s_delay_alu instid0(SALU_CYCLE_1)
	s_and_not1_b32 vcc_lo, exec_lo, s17
	s_cbranch_vccnz .LBB28_3
; %bb.12:                               ;   in Loop: Header=BB28_4 Depth=1
	s_wait_xcnt 0x0
	v_mov_b64_e32 v[0:1], 0
	v_mov_b64_e32 v[2:3], 0
	s_and_not1_b32 vcc_lo, exec_lo, s15
	s_cbranch_vccnz .LBB28_2
; %bb.13:                               ;   in Loop: Header=BB28_4 Depth=1
	global_load_b128 v[10:13], v[8:9], off
	s_wait_loadcnt 0x0
	v_mul_f64_e32 v[0:1], s[6:7], v[12:13]
	v_mul_f64_e32 v[2:3], s[4:5], v[12:13]
	s_delay_alu instid0(VALU_DEP_2) | instskip(NEXT) | instid1(VALU_DEP_2)
	v_fma_f64 v[0:1], s[4:5], v[10:11], -v[0:1]
	v_fmac_f64_e32 v[2:3], s[6:7], v[10:11]
	s_branch .LBB28_2
.LBB28_14:
	s_endpgm
	.section	.rodata,"a",@progbits
	.p2align	6, 0x0
	.amdhsa_kernel _ZL27rocblas_geam_inplace_deviceILi16ELi16E19rocblas_complex_numIdEPKS1_PS1_Ev18rocblas_operation_iiT1_S6_T2_lllT3_llli
		.amdhsa_group_segment_fixed_size 0
		.amdhsa_private_segment_fixed_size 0
		.amdhsa_kernarg_size 116
		.amdhsa_user_sgpr_count 2
		.amdhsa_user_sgpr_dispatch_ptr 0
		.amdhsa_user_sgpr_queue_ptr 0
		.amdhsa_user_sgpr_kernarg_segment_ptr 1
		.amdhsa_user_sgpr_dispatch_id 0
		.amdhsa_user_sgpr_kernarg_preload_length 0
		.amdhsa_user_sgpr_kernarg_preload_offset 0
		.amdhsa_user_sgpr_private_segment_size 0
		.amdhsa_wavefront_size32 1
		.amdhsa_uses_dynamic_stack 0
		.amdhsa_enable_private_segment 0
		.amdhsa_system_sgpr_workgroup_id_x 1
		.amdhsa_system_sgpr_workgroup_id_y 0
		.amdhsa_system_sgpr_workgroup_id_z 1
		.amdhsa_system_sgpr_workgroup_info 0
		.amdhsa_system_vgpr_workitem_id 1
		.amdhsa_next_free_vgpr 16
		.amdhsa_next_free_sgpr 38
		.amdhsa_named_barrier_count 0
		.amdhsa_reserve_vcc 1
		.amdhsa_float_round_mode_32 0
		.amdhsa_float_round_mode_16_64 0
		.amdhsa_float_denorm_mode_32 3
		.amdhsa_float_denorm_mode_16_64 3
		.amdhsa_fp16_overflow 0
		.amdhsa_memory_ordered 1
		.amdhsa_forward_progress 1
		.amdhsa_inst_pref_size 7
		.amdhsa_round_robin_scheduling 0
		.amdhsa_exception_fp_ieee_invalid_op 0
		.amdhsa_exception_fp_denorm_src 0
		.amdhsa_exception_fp_ieee_div_zero 0
		.amdhsa_exception_fp_ieee_overflow 0
		.amdhsa_exception_fp_ieee_underflow 0
		.amdhsa_exception_fp_ieee_inexact 0
		.amdhsa_exception_int_div_zero 0
	.end_amdhsa_kernel
	.section	.text._ZL27rocblas_geam_inplace_deviceILi16ELi16E19rocblas_complex_numIdEPKS1_PS1_Ev18rocblas_operation_iiT1_S6_T2_lllT3_llli,"axG",@progbits,_ZL27rocblas_geam_inplace_deviceILi16ELi16E19rocblas_complex_numIdEPKS1_PS1_Ev18rocblas_operation_iiT1_S6_T2_lllT3_llli,comdat
.Lfunc_end28:
	.size	_ZL27rocblas_geam_inplace_deviceILi16ELi16E19rocblas_complex_numIdEPKS1_PS1_Ev18rocblas_operation_iiT1_S6_T2_lllT3_llli, .Lfunc_end28-_ZL27rocblas_geam_inplace_deviceILi16ELi16E19rocblas_complex_numIdEPKS1_PS1_Ev18rocblas_operation_iiT1_S6_T2_lllT3_llli
                                        ; -- End function
	.set _ZL27rocblas_geam_inplace_deviceILi16ELi16E19rocblas_complex_numIdEPKS1_PS1_Ev18rocblas_operation_iiT1_S6_T2_lllT3_llli.num_vgpr, 16
	.set _ZL27rocblas_geam_inplace_deviceILi16ELi16E19rocblas_complex_numIdEPKS1_PS1_Ev18rocblas_operation_iiT1_S6_T2_lllT3_llli.num_agpr, 0
	.set _ZL27rocblas_geam_inplace_deviceILi16ELi16E19rocblas_complex_numIdEPKS1_PS1_Ev18rocblas_operation_iiT1_S6_T2_lllT3_llli.numbered_sgpr, 38
	.set _ZL27rocblas_geam_inplace_deviceILi16ELi16E19rocblas_complex_numIdEPKS1_PS1_Ev18rocblas_operation_iiT1_S6_T2_lllT3_llli.num_named_barrier, 0
	.set _ZL27rocblas_geam_inplace_deviceILi16ELi16E19rocblas_complex_numIdEPKS1_PS1_Ev18rocblas_operation_iiT1_S6_T2_lllT3_llli.private_seg_size, 0
	.set _ZL27rocblas_geam_inplace_deviceILi16ELi16E19rocblas_complex_numIdEPKS1_PS1_Ev18rocblas_operation_iiT1_S6_T2_lllT3_llli.uses_vcc, 1
	.set _ZL27rocblas_geam_inplace_deviceILi16ELi16E19rocblas_complex_numIdEPKS1_PS1_Ev18rocblas_operation_iiT1_S6_T2_lllT3_llli.uses_flat_scratch, 0
	.set _ZL27rocblas_geam_inplace_deviceILi16ELi16E19rocblas_complex_numIdEPKS1_PS1_Ev18rocblas_operation_iiT1_S6_T2_lllT3_llli.has_dyn_sized_stack, 0
	.set _ZL27rocblas_geam_inplace_deviceILi16ELi16E19rocblas_complex_numIdEPKS1_PS1_Ev18rocblas_operation_iiT1_S6_T2_lllT3_llli.has_recursion, 0
	.set _ZL27rocblas_geam_inplace_deviceILi16ELi16E19rocblas_complex_numIdEPKS1_PS1_Ev18rocblas_operation_iiT1_S6_T2_lllT3_llli.has_indirect_call, 0
	.section	.AMDGPU.csdata,"",@progbits
; Kernel info:
; codeLenInByte = 884
; TotalNumSgprs: 40
; NumVgprs: 16
; ScratchSize: 0
; MemoryBound: 0
; FloatMode: 240
; IeeeMode: 1
; LDSByteSize: 0 bytes/workgroup (compile time only)
; SGPRBlocks: 0
; VGPRBlocks: 0
; NumSGPRsForWavesPerEU: 40
; NumVGPRsForWavesPerEU: 16
; NamedBarCnt: 0
; Occupancy: 16
; WaveLimiterHint : 0
; COMPUTE_PGM_RSRC2:SCRATCH_EN: 0
; COMPUTE_PGM_RSRC2:USER_SGPR: 2
; COMPUTE_PGM_RSRC2:TRAP_HANDLER: 0
; COMPUTE_PGM_RSRC2:TGID_X_EN: 1
; COMPUTE_PGM_RSRC2:TGID_Y_EN: 0
; COMPUTE_PGM_RSRC2:TGID_Z_EN: 1
; COMPUTE_PGM_RSRC2:TIDIG_COMP_CNT: 1
	.section	.text._ZL27rocblas_geam_inplace_deviceILi16ELi16EPK19rocblas_complex_numIdES3_PS1_Ev18rocblas_operation_iiT1_S6_T2_lllT3_llli,"axG",@progbits,_ZL27rocblas_geam_inplace_deviceILi16ELi16EPK19rocblas_complex_numIdES3_PS1_Ev18rocblas_operation_iiT1_S6_T2_lllT3_llli,comdat
	.globl	_ZL27rocblas_geam_inplace_deviceILi16ELi16EPK19rocblas_complex_numIdES3_PS1_Ev18rocblas_operation_iiT1_S6_T2_lllT3_llli ; -- Begin function _ZL27rocblas_geam_inplace_deviceILi16ELi16EPK19rocblas_complex_numIdES3_PS1_Ev18rocblas_operation_iiT1_S6_T2_lllT3_llli
	.p2align	8
	.type	_ZL27rocblas_geam_inplace_deviceILi16ELi16EPK19rocblas_complex_numIdES3_PS1_Ev18rocblas_operation_iiT1_S6_T2_lllT3_llli,@function
_ZL27rocblas_geam_inplace_deviceILi16ELi16EPK19rocblas_complex_numIdES3_PS1_Ev18rocblas_operation_iiT1_S6_T2_lllT3_llli: ; @_ZL27rocblas_geam_inplace_deviceILi16ELi16EPK19rocblas_complex_numIdES3_PS1_Ev18rocblas_operation_iiT1_S6_T2_lllT3_llli
; %bb.0:
	s_load_b32 s27, s[0:1], 0x60
	s_bfe_u32 s2, ttmp6, 0x40014
	s_lshr_b32 s3, ttmp7, 16
	s_add_co_i32 s2, s2, 1
	s_bfe_u32 s4, ttmp6, 0x40008
	s_mul_i32 s2, s3, s2
	s_getreg_b32 s20, hwreg(HW_REG_IB_STS2, 6, 4)
	s_add_co_i32 s4, s4, s2
	s_cmp_eq_u32 s20, 0
	s_cselect_b32 s2, s3, s4
	s_mov_b32 s3, 0
	s_wait_kmcnt 0x0
	s_cmp_ge_u32 s2, s27
	s_cbranch_scc1 .LBB29_14
; %bb.1:
	s_load_b96 s[24:26], s[0:1], 0x0
	s_bfe_u32 s28, ttmp6, 0x4000c
	s_and_b32 s29, ttmp6, 15
	s_add_co_i32 s28, s28, 1
	v_and_b32_e32 v2, 0x3ff, v0
	s_mul_i32 s28, ttmp9, s28
	v_mov_b32_e32 v18, 0
	s_add_co_i32 s30, s29, s28
	s_wait_kmcnt 0x0
	s_add_co_i32 s4, s25, -1
	s_delay_alu instid0(SALU_CYCLE_1) | instskip(NEXT) | instid1(SALU_CYCLE_1)
	s_ashr_i32 s5, s4, 31
	s_lshr_b32 s5, s5, 28
	s_delay_alu instid0(SALU_CYCLE_1) | instskip(NEXT) | instid1(SALU_CYCLE_1)
	s_add_co_i32 s4, s4, s5
	s_ashr_i32 s21, s4, 4
	s_delay_alu instid0(SALU_CYCLE_1) | instskip(SKIP_2) | instid1(SALU_CYCLE_3)
	s_add_co_i32 s22, s21, 1
	s_not_b32 s21, s21
	s_cvt_f32_u32 s4, s22
	v_rcp_iflag_f32_e32 v1, s4
	s_load_b512 s[4:19], s[0:1], 0x10
	v_nop
	s_delay_alu instid0(TRANS32_DEP_1) | instskip(SKIP_2) | instid1(SALU_CYCLE_3)
	v_readfirstlane_b32 s23, v1
	v_bfe_u32 v1, v0, 10, 10
	s_mul_f32 s23, s23, 0x4f7ffffe
	s_cvt_u32_f32 s23, s23
	s_delay_alu instid0(SALU_CYCLE_3)
	s_mul_i32 s21, s21, s23
	s_wait_kmcnt 0x0
	s_lshl_b64 s[18:19], s[18:19], 4
	s_mul_hi_u32 s21, s23, s21
	s_lshl_b64 s[28:29], s[10:11], 4
	s_add_co_i32 s23, s23, s21
	s_cmp_eq_u32 s20, 0
	s_cselect_b32 s10, ttmp9, s30
	s_delay_alu instid0(SALU_CYCLE_1) | instskip(NEXT) | instid1(SALU_CYCLE_1)
	s_mul_hi_u32 s11, s10, s23
	s_mul_i32 s20, s11, s22
	s_add_co_i32 s21, s11, 1
	s_sub_co_i32 s20, s10, s20
	s_delay_alu instid0(SALU_CYCLE_1)
	s_sub_co_i32 s23, s20, s22
	s_cmp_ge_u32 s20, s22
	s_cselect_b32 s11, s21, s11
	s_cselect_b32 s20, s23, s20
	s_add_co_i32 s21, s11, 1
	s_cmp_ge_u32 s20, s22
	s_cselect_b32 s11, s21, s11
	s_delay_alu instid0(SALU_CYCLE_1)
	s_mul_i32 s30, s11, s22
	s_load_b128 s[20:23], s[0:1], 0x50
	s_wait_xcnt 0x0
	s_sub_co_i32 s0, s10, s30
	v_lshl_add_u32 v0, s11, 4, v1
	v_lshl_add_u32 v2, s0, 4, v2
	s_delay_alu instid0(VALU_DEP_1) | instskip(SKIP_2) | instid1(VALU_DEP_3)
	v_dual_ashrrev_i32 v1, 31, v0 :: v_dual_ashrrev_i32 v3, 31, v2
	v_cmp_gt_i32_e32 vcc_lo, s26, v0
	v_cmp_gt_i32_e64 s0, s25, v2
	v_mad_nc_u64_u32 v[4:5], s12, v2, v[0:1]
	s_delay_alu instid0(VALU_DEP_4)
	v_mad_nc_u64_u32 v[6:7], s12, v0, v[2:3]
	s_and_b32 s10, s0, vcc_lo
	s_cmp_eq_u32 s24, 0x6f
	s_add_nc_u64 s[0:1], s[8:9], s[28:29]
	s_cselect_b32 vcc_lo, -1, 0
	s_cmp_eq_u32 s24, 0x71
	s_wait_kmcnt 0x0
	v_mad_nc_u64_u32 v[12:13], s20, v0, v[2:3]
	s_add_nc_u64 s[8:9], s[16:17], s[18:19]
	s_delay_alu instid0(VALU_DEP_3) | instskip(NEXT) | instid1(VALU_DEP_3)
	v_mad_u32 v5, s13, v2, v5
	v_mad_u32 v7, s13, v0, v7
	s_delay_alu instid0(VALU_DEP_3) | instskip(SKIP_1) | instid1(VALU_DEP_4)
	v_mad_u32 v8, s21, v0, v13
	v_cndmask_b32_e32 v0, v4, v6, vcc_lo
	v_mad_u32 v3, s12, v3, v5
	s_delay_alu instid0(VALU_DEP_4) | instskip(NEXT) | instid1(VALU_DEP_4)
	v_mad_u32 v5, s12, v1, v7
	v_mad_u32 v13, s20, v1, v8
	s_delay_alu instid0(VALU_DEP_2) | instskip(NEXT) | instid1(VALU_DEP_1)
	v_cndmask_b32_e32 v1, v3, v5, vcc_lo
	v_lshl_add_u64 v[14:15], v[0:1], 4, s[0:1]
	s_cselect_b32 s0, -1, 0
	s_branch .LBB29_4
.LBB29_2:                               ;   in Loop: Header=BB29_4 Depth=1
	global_store_b128 v[16:17], v[4:7], off
.LBB29_3:                               ;   in Loop: Header=BB29_4 Depth=1
	s_wait_xcnt 0x0
	s_or_b32 exec_lo, exec_lo, s11
	s_add_co_i32 s2, s2, 0x10000
	s_delay_alu instid0(SALU_CYCLE_1)
	s_cmp_lt_u32 s2, s27
	s_cbranch_scc0 .LBB29_14
.LBB29_4:                               ; =>This Inner Loop Header: Depth=1
	s_and_saveexec_b32 s11, s10
	s_cbranch_execz .LBB29_3
; %bb.5:                                ;   in Loop: Header=BB29_4 Depth=1
	global_load_b128 v[4:7], v18, s[6:7]
	s_wait_loadcnt 0x1
	global_load_b128 v[0:3], v18, s[4:5]
	s_mul_u64 s[12:13], s[22:23], s[2:3]
	s_delay_alu instid0(SALU_CYCLE_1) | instskip(NEXT) | instid1(SALU_CYCLE_1)
	s_lshl_b64 s[12:13], s[12:13], 4
	s_add_nc_u64 s[12:13], s[8:9], s[12:13]
	s_delay_alu instid0(SALU_CYCLE_1) | instskip(SKIP_4) | instid1(SALU_CYCLE_1)
	v_lshl_add_u64 v[16:17], v[12:13], 4, s[12:13]
	s_wait_loadcnt 0x1
	v_cmp_eq_f64_e32 vcc_lo, 0, v[4:5]
	v_cmp_eq_f64_e64 s1, 0, v[6:7]
	s_and_b32 s1, vcc_lo, s1
	s_and_not1_b32 vcc_lo, exec_lo, s1
	s_mov_b32 s1, -1
	s_cbranch_vccz .LBB29_11
; %bb.6:                                ;   in Loop: Header=BB29_4 Depth=1
	s_mul_u64 s[12:13], s[14:15], s[2:3]
	s_wait_loadcnt 0x0
	v_cmp_eq_f64_e32 vcc_lo, 0, v[0:1]
	v_lshl_add_u64 v[8:9], s[12:13], 4, v[14:15]
	v_cmp_eq_f64_e64 s1, 0, v[2:3]
	global_load_b128 v[20:23], v[8:9], off
	s_and_b32 s1, vcc_lo, s1
	s_delay_alu instid0(SALU_CYCLE_1) | instskip(SKIP_4) | instid1(VALU_DEP_1)
	s_and_not1_b32 vcc_lo, exec_lo, s1
	s_mov_b32 s1, -1
	s_wait_loadcnt 0x0
	s_wait_xcnt 0x0
	v_xor_b32_e32 v8, 0x80000000, v23
	v_cndmask_b32_e64 v23, v23, v8, s0
	s_delay_alu instid0(VALU_DEP_1) | instskip(SKIP_1) | instid1(VALU_DEP_2)
	v_mul_f64_e32 v[8:9], v[6:7], v[22:23]
	v_mul_f64_e32 v[10:11], v[4:5], v[22:23]
	v_fma_f64 v[8:9], v[4:5], v[20:21], -v[8:9]
	s_delay_alu instid0(VALU_DEP_2)
	v_fmac_f64_e32 v[10:11], v[6:7], v[20:21]
	s_cbranch_vccz .LBB29_8
; %bb.7:                                ;   in Loop: Header=BB29_4 Depth=1
	global_load_b128 v[4:7], v[16:17], off
	s_mov_b32 s1, 0
	s_wait_loadcnt 0x0
	v_mul_f64_e32 v[20:21], v[2:3], v[6:7]
	v_mul_f64_e32 v[6:7], v[0:1], v[6:7]
	s_delay_alu instid0(VALU_DEP_2) | instskip(NEXT) | instid1(VALU_DEP_2)
	v_fma_f64 v[20:21], v[0:1], v[4:5], -v[20:21]
	v_fmac_f64_e32 v[6:7], v[2:3], v[4:5]
	s_delay_alu instid0(VALU_DEP_2) | instskip(NEXT) | instid1(VALU_DEP_2)
	v_add_f64_e32 v[4:5], v[8:9], v[20:21]
	v_add_f64_e32 v[6:7], v[10:11], v[6:7]
	global_store_b128 v[16:17], v[4:7], off
.LBB29_8:                               ;   in Loop: Header=BB29_4 Depth=1
	s_and_not1_b32 vcc_lo, exec_lo, s1
	s_cbranch_vccnz .LBB29_10
; %bb.9:                                ;   in Loop: Header=BB29_4 Depth=1
	global_store_b128 v[16:17], v[8:11], off
.LBB29_10:                              ;   in Loop: Header=BB29_4 Depth=1
	s_mov_b32 s1, 0
.LBB29_11:                              ;   in Loop: Header=BB29_4 Depth=1
	s_delay_alu instid0(SALU_CYCLE_1)
	s_and_not1_b32 vcc_lo, exec_lo, s1
	s_cbranch_vccnz .LBB29_3
; %bb.12:                               ;   in Loop: Header=BB29_4 Depth=1
	s_wait_loadcnt 0x0
	v_cmp_neq_f64_e32 vcc_lo, 0, v[0:1]
	v_cmp_neq_f64_e64 s1, 0, v[2:3]
	s_wait_xcnt 0x0
	v_mov_b64_e32 v[4:5], 0
	v_mov_b64_e32 v[6:7], 0
	s_or_b32 s1, vcc_lo, s1
	s_delay_alu instid0(SALU_CYCLE_1)
	s_and_not1_b32 vcc_lo, exec_lo, s1
	s_cbranch_vccnz .LBB29_2
; %bb.13:                               ;   in Loop: Header=BB29_4 Depth=1
	global_load_b128 v[8:11], v[16:17], off
	s_wait_loadcnt 0x0
	v_mul_f64_e32 v[4:5], v[2:3], v[10:11]
	v_mul_f64_e32 v[6:7], v[0:1], v[10:11]
	s_delay_alu instid0(VALU_DEP_2) | instskip(NEXT) | instid1(VALU_DEP_2)
	v_fma_f64 v[4:5], v[0:1], v[8:9], -v[4:5]
	v_fmac_f64_e32 v[6:7], v[2:3], v[8:9]
	s_branch .LBB29_2
.LBB29_14:
	s_endpgm
	.section	.rodata,"a",@progbits
	.p2align	6, 0x0
	.amdhsa_kernel _ZL27rocblas_geam_inplace_deviceILi16ELi16EPK19rocblas_complex_numIdES3_PS1_Ev18rocblas_operation_iiT1_S6_T2_lllT3_llli
		.amdhsa_group_segment_fixed_size 0
		.amdhsa_private_segment_fixed_size 0
		.amdhsa_kernarg_size 100
		.amdhsa_user_sgpr_count 2
		.amdhsa_user_sgpr_dispatch_ptr 0
		.amdhsa_user_sgpr_queue_ptr 0
		.amdhsa_user_sgpr_kernarg_segment_ptr 1
		.amdhsa_user_sgpr_dispatch_id 0
		.amdhsa_user_sgpr_kernarg_preload_length 0
		.amdhsa_user_sgpr_kernarg_preload_offset 0
		.amdhsa_user_sgpr_private_segment_size 0
		.amdhsa_wavefront_size32 1
		.amdhsa_uses_dynamic_stack 0
		.amdhsa_enable_private_segment 0
		.amdhsa_system_sgpr_workgroup_id_x 1
		.amdhsa_system_sgpr_workgroup_id_y 0
		.amdhsa_system_sgpr_workgroup_id_z 1
		.amdhsa_system_sgpr_workgroup_info 0
		.amdhsa_system_vgpr_workitem_id 1
		.amdhsa_next_free_vgpr 24
		.amdhsa_next_free_sgpr 31
		.amdhsa_named_barrier_count 0
		.amdhsa_reserve_vcc 1
		.amdhsa_float_round_mode_32 0
		.amdhsa_float_round_mode_16_64 0
		.amdhsa_float_denorm_mode_32 3
		.amdhsa_float_denorm_mode_16_64 3
		.amdhsa_fp16_overflow 0
		.amdhsa_memory_ordered 1
		.amdhsa_forward_progress 1
		.amdhsa_inst_pref_size 8
		.amdhsa_round_robin_scheduling 0
		.amdhsa_exception_fp_ieee_invalid_op 0
		.amdhsa_exception_fp_denorm_src 0
		.amdhsa_exception_fp_ieee_div_zero 0
		.amdhsa_exception_fp_ieee_overflow 0
		.amdhsa_exception_fp_ieee_underflow 0
		.amdhsa_exception_fp_ieee_inexact 0
		.amdhsa_exception_int_div_zero 0
	.end_amdhsa_kernel
	.section	.text._ZL27rocblas_geam_inplace_deviceILi16ELi16EPK19rocblas_complex_numIdES3_PS1_Ev18rocblas_operation_iiT1_S6_T2_lllT3_llli,"axG",@progbits,_ZL27rocblas_geam_inplace_deviceILi16ELi16EPK19rocblas_complex_numIdES3_PS1_Ev18rocblas_operation_iiT1_S6_T2_lllT3_llli,comdat
.Lfunc_end29:
	.size	_ZL27rocblas_geam_inplace_deviceILi16ELi16EPK19rocblas_complex_numIdES3_PS1_Ev18rocblas_operation_iiT1_S6_T2_lllT3_llli, .Lfunc_end29-_ZL27rocblas_geam_inplace_deviceILi16ELi16EPK19rocblas_complex_numIdES3_PS1_Ev18rocblas_operation_iiT1_S6_T2_lllT3_llli
                                        ; -- End function
	.set _ZL27rocblas_geam_inplace_deviceILi16ELi16EPK19rocblas_complex_numIdES3_PS1_Ev18rocblas_operation_iiT1_S6_T2_lllT3_llli.num_vgpr, 24
	.set _ZL27rocblas_geam_inplace_deviceILi16ELi16EPK19rocblas_complex_numIdES3_PS1_Ev18rocblas_operation_iiT1_S6_T2_lllT3_llli.num_agpr, 0
	.set _ZL27rocblas_geam_inplace_deviceILi16ELi16EPK19rocblas_complex_numIdES3_PS1_Ev18rocblas_operation_iiT1_S6_T2_lllT3_llli.numbered_sgpr, 31
	.set _ZL27rocblas_geam_inplace_deviceILi16ELi16EPK19rocblas_complex_numIdES3_PS1_Ev18rocblas_operation_iiT1_S6_T2_lllT3_llli.num_named_barrier, 0
	.set _ZL27rocblas_geam_inplace_deviceILi16ELi16EPK19rocblas_complex_numIdES3_PS1_Ev18rocblas_operation_iiT1_S6_T2_lllT3_llli.private_seg_size, 0
	.set _ZL27rocblas_geam_inplace_deviceILi16ELi16EPK19rocblas_complex_numIdES3_PS1_Ev18rocblas_operation_iiT1_S6_T2_lllT3_llli.uses_vcc, 1
	.set _ZL27rocblas_geam_inplace_deviceILi16ELi16EPK19rocblas_complex_numIdES3_PS1_Ev18rocblas_operation_iiT1_S6_T2_lllT3_llli.uses_flat_scratch, 0
	.set _ZL27rocblas_geam_inplace_deviceILi16ELi16EPK19rocblas_complex_numIdES3_PS1_Ev18rocblas_operation_iiT1_S6_T2_lllT3_llli.has_dyn_sized_stack, 0
	.set _ZL27rocblas_geam_inplace_deviceILi16ELi16EPK19rocblas_complex_numIdES3_PS1_Ev18rocblas_operation_iiT1_S6_T2_lllT3_llli.has_recursion, 0
	.set _ZL27rocblas_geam_inplace_deviceILi16ELi16EPK19rocblas_complex_numIdES3_PS1_Ev18rocblas_operation_iiT1_S6_T2_lllT3_llli.has_indirect_call, 0
	.section	.AMDGPU.csdata,"",@progbits
; Kernel info:
; codeLenInByte = 956
; TotalNumSgprs: 33
; NumVgprs: 24
; ScratchSize: 0
; MemoryBound: 1
; FloatMode: 240
; IeeeMode: 1
; LDSByteSize: 0 bytes/workgroup (compile time only)
; SGPRBlocks: 0
; VGPRBlocks: 1
; NumSGPRsForWavesPerEU: 33
; NumVGPRsForWavesPerEU: 24
; NamedBarCnt: 0
; Occupancy: 16
; WaveLimiterHint : 0
; COMPUTE_PGM_RSRC2:SCRATCH_EN: 0
; COMPUTE_PGM_RSRC2:USER_SGPR: 2
; COMPUTE_PGM_RSRC2:TRAP_HANDLER: 0
; COMPUTE_PGM_RSRC2:TGID_X_EN: 1
; COMPUTE_PGM_RSRC2:TGID_Y_EN: 0
; COMPUTE_PGM_RSRC2:TGID_Z_EN: 1
; COMPUTE_PGM_RSRC2:TIDIG_COMP_CNT: 1
	.section	.text._ZL30rocblas_geam_1D_2matrix_deviceILi256E19rocblas_complex_numIdEPKS1_PS1_EvmT0_T1_llT2_lli,"axG",@progbits,_ZL30rocblas_geam_1D_2matrix_deviceILi256E19rocblas_complex_numIdEPKS1_PS1_EvmT0_T1_llT2_lli,comdat
	.globl	_ZL30rocblas_geam_1D_2matrix_deviceILi256E19rocblas_complex_numIdEPKS1_PS1_EvmT0_T1_llT2_lli ; -- Begin function _ZL30rocblas_geam_1D_2matrix_deviceILi256E19rocblas_complex_numIdEPKS1_PS1_EvmT0_T1_llT2_lli
	.p2align	8
	.type	_ZL30rocblas_geam_1D_2matrix_deviceILi256E19rocblas_complex_numIdEPKS1_PS1_EvmT0_T1_llT2_lli,@function
_ZL30rocblas_geam_1D_2matrix_deviceILi256E19rocblas_complex_numIdEPKS1_PS1_EvmT0_T1_llT2_lli: ; @_ZL30rocblas_geam_1D_2matrix_deviceILi256E19rocblas_complex_numIdEPKS1_PS1_EvmT0_T1_llT2_lli
; %bb.0:
	s_load_b32 s22, s[0:1], 0x48
	s_bfe_u32 s2, ttmp6, 0x40014
	s_lshr_b32 s3, ttmp7, 16
	s_add_co_i32 s2, s2, 1
	s_bfe_u32 s4, ttmp6, 0x40008
	s_mul_i32 s2, s3, s2
	s_getreg_b32 s20, hwreg(HW_REG_IB_STS2, 6, 4)
	s_add_co_i32 s4, s4, s2
	s_cmp_eq_u32 s20, 0
	s_cselect_b32 s2, s3, s4
	s_mov_b32 s3, 0
	s_wait_kmcnt 0x0
	s_cmp_ge_u32 s2, s22
	s_cbranch_scc1 .LBB30_7
; %bb.1:
	s_clause 0x1
	s_load_b512 s[4:19], s[0:1], 0x0
	s_load_b32 s21, s[0:1], 0x5c
	s_bfe_u32 s23, ttmp6, 0x4000c
	s_and_b32 s26, ttmp6, 15
	s_add_co_i32 s23, s23, 1
	v_mov_b32_e32 v1, 0
	s_mul_i32 s23, ttmp9, s23
	s_delay_alu instid0(SALU_CYCLE_1)
	s_add_co_i32 s26, s26, s23
	s_wait_kmcnt 0x0
	v_cmp_neq_f64_e64 s24, s[6:7], 0
	v_cmp_neq_f64_e64 s25, s[8:9], 0
	s_and_b32 s21, s21, 0xffff
	s_cmp_eq_u32 s20, 0
	s_cselect_b32 s20, ttmp9, s26
	s_lshl_b64 s[12:13], s[12:13], 4
	v_mad_nc_u64_u32 v[0:1], s21, s20, v[0:1]
	s_load_b64 s[20:21], s[0:1], 0x40
	s_wait_xcnt 0x0
	s_lshl_b64 s[0:1], s[18:19], 4
	s_add_nc_u64 s[10:11], s[10:11], s[12:13]
	s_add_nc_u64 s[16:17], s[16:17], s[0:1]
	s_delay_alu instid0(VALU_DEP_1) | instskip(SKIP_1) | instid1(VALU_DEP_2)
	v_lshlrev_b64_e32 v[2:3], 4, v[0:1]
	v_cmp_gt_u64_e64 s0, s[4:5], v[0:1]
	v_add_nc_u64_e32 v[4:5], s[10:11], v[2:3]
	v_add_nc_u64_e32 v[6:7], s[16:17], v[2:3]
	s_or_b32 s1, s24, s25
	s_branch .LBB30_4
.LBB30_2:                               ;   in Loop: Header=BB30_4 Depth=1
	s_wait_kmcnt 0x0
	s_mul_u64 s[10:11], s[20:21], s[2:3]
	s_delay_alu instid0(SALU_CYCLE_1)
	v_lshl_add_u64 v[8:9], s[10:11], 4, v[6:7]
	global_store_b128 v[8:9], v[0:3], off
.LBB30_3:                               ;   in Loop: Header=BB30_4 Depth=1
	s_wait_xcnt 0x0
	s_or_b32 exec_lo, exec_lo, s4
	s_add_co_i32 s2, s2, 0x10000
	s_delay_alu instid0(SALU_CYCLE_1)
	s_cmp_lt_u32 s2, s22
	s_cbranch_scc0 .LBB30_7
.LBB30_4:                               ; =>This Inner Loop Header: Depth=1
	s_and_saveexec_b32 s4, s0
	s_cbranch_execz .LBB30_3
; %bb.5:                                ;   in Loop: Header=BB30_4 Depth=1
	v_mov_b64_e32 v[0:1], 0
	v_mov_b64_e32 v[2:3], 0
	s_and_not1_b32 vcc_lo, exec_lo, s1
	s_cbranch_vccnz .LBB30_2
; %bb.6:                                ;   in Loop: Header=BB30_4 Depth=1
	s_mul_u64 s[10:11], s[14:15], s[2:3]
	s_delay_alu instid0(SALU_CYCLE_1)
	v_lshl_add_u64 v[0:1], s[10:11], 4, v[4:5]
	global_load_b128 v[8:11], v[0:1], off
	s_wait_loadcnt 0x0
	s_wait_xcnt 0x0
	v_mul_f64_e32 v[0:1], s[8:9], v[10:11]
	v_mul_f64_e32 v[2:3], s[6:7], v[10:11]
	s_delay_alu instid0(VALU_DEP_2) | instskip(NEXT) | instid1(VALU_DEP_2)
	v_fma_f64 v[0:1], s[6:7], v[8:9], -v[0:1]
	v_fmac_f64_e32 v[2:3], s[8:9], v[8:9]
	s_branch .LBB30_2
.LBB30_7:
	s_endpgm
	.section	.rodata,"a",@progbits
	.p2align	6, 0x0
	.amdhsa_kernel _ZL30rocblas_geam_1D_2matrix_deviceILi256E19rocblas_complex_numIdEPKS1_PS1_EvmT0_T1_llT2_lli
		.amdhsa_group_segment_fixed_size 0
		.amdhsa_private_segment_fixed_size 0
		.amdhsa_kernarg_size 336
		.amdhsa_user_sgpr_count 2
		.amdhsa_user_sgpr_dispatch_ptr 0
		.amdhsa_user_sgpr_queue_ptr 0
		.amdhsa_user_sgpr_kernarg_segment_ptr 1
		.amdhsa_user_sgpr_dispatch_id 0
		.amdhsa_user_sgpr_kernarg_preload_length 0
		.amdhsa_user_sgpr_kernarg_preload_offset 0
		.amdhsa_user_sgpr_private_segment_size 0
		.amdhsa_wavefront_size32 1
		.amdhsa_uses_dynamic_stack 0
		.amdhsa_enable_private_segment 0
		.amdhsa_system_sgpr_workgroup_id_x 1
		.amdhsa_system_sgpr_workgroup_id_y 0
		.amdhsa_system_sgpr_workgroup_id_z 1
		.amdhsa_system_sgpr_workgroup_info 0
		.amdhsa_system_vgpr_workitem_id 0
		.amdhsa_next_free_vgpr 12
		.amdhsa_next_free_sgpr 27
		.amdhsa_named_barrier_count 0
		.amdhsa_reserve_vcc 1
		.amdhsa_float_round_mode_32 0
		.amdhsa_float_round_mode_16_64 0
		.amdhsa_float_denorm_mode_32 3
		.amdhsa_float_denorm_mode_16_64 3
		.amdhsa_fp16_overflow 0
		.amdhsa_memory_ordered 1
		.amdhsa_forward_progress 1
		.amdhsa_inst_pref_size 3
		.amdhsa_round_robin_scheduling 0
		.amdhsa_exception_fp_ieee_invalid_op 0
		.amdhsa_exception_fp_denorm_src 0
		.amdhsa_exception_fp_ieee_div_zero 0
		.amdhsa_exception_fp_ieee_overflow 0
		.amdhsa_exception_fp_ieee_underflow 0
		.amdhsa_exception_fp_ieee_inexact 0
		.amdhsa_exception_int_div_zero 0
	.end_amdhsa_kernel
	.section	.text._ZL30rocblas_geam_1D_2matrix_deviceILi256E19rocblas_complex_numIdEPKS1_PS1_EvmT0_T1_llT2_lli,"axG",@progbits,_ZL30rocblas_geam_1D_2matrix_deviceILi256E19rocblas_complex_numIdEPKS1_PS1_EvmT0_T1_llT2_lli,comdat
.Lfunc_end30:
	.size	_ZL30rocblas_geam_1D_2matrix_deviceILi256E19rocblas_complex_numIdEPKS1_PS1_EvmT0_T1_llT2_lli, .Lfunc_end30-_ZL30rocblas_geam_1D_2matrix_deviceILi256E19rocblas_complex_numIdEPKS1_PS1_EvmT0_T1_llT2_lli
                                        ; -- End function
	.set _ZL30rocblas_geam_1D_2matrix_deviceILi256E19rocblas_complex_numIdEPKS1_PS1_EvmT0_T1_llT2_lli.num_vgpr, 12
	.set _ZL30rocblas_geam_1D_2matrix_deviceILi256E19rocblas_complex_numIdEPKS1_PS1_EvmT0_T1_llT2_lli.num_agpr, 0
	.set _ZL30rocblas_geam_1D_2matrix_deviceILi256E19rocblas_complex_numIdEPKS1_PS1_EvmT0_T1_llT2_lli.numbered_sgpr, 27
	.set _ZL30rocblas_geam_1D_2matrix_deviceILi256E19rocblas_complex_numIdEPKS1_PS1_EvmT0_T1_llT2_lli.num_named_barrier, 0
	.set _ZL30rocblas_geam_1D_2matrix_deviceILi256E19rocblas_complex_numIdEPKS1_PS1_EvmT0_T1_llT2_lli.private_seg_size, 0
	.set _ZL30rocblas_geam_1D_2matrix_deviceILi256E19rocblas_complex_numIdEPKS1_PS1_EvmT0_T1_llT2_lli.uses_vcc, 1
	.set _ZL30rocblas_geam_1D_2matrix_deviceILi256E19rocblas_complex_numIdEPKS1_PS1_EvmT0_T1_llT2_lli.uses_flat_scratch, 0
	.set _ZL30rocblas_geam_1D_2matrix_deviceILi256E19rocblas_complex_numIdEPKS1_PS1_EvmT0_T1_llT2_lli.has_dyn_sized_stack, 0
	.set _ZL30rocblas_geam_1D_2matrix_deviceILi256E19rocblas_complex_numIdEPKS1_PS1_EvmT0_T1_llT2_lli.has_recursion, 0
	.set _ZL30rocblas_geam_1D_2matrix_deviceILi256E19rocblas_complex_numIdEPKS1_PS1_EvmT0_T1_llT2_lli.has_indirect_call, 0
	.section	.AMDGPU.csdata,"",@progbits
; Kernel info:
; codeLenInByte = 376
; TotalNumSgprs: 29
; NumVgprs: 12
; ScratchSize: 0
; MemoryBound: 0
; FloatMode: 240
; IeeeMode: 1
; LDSByteSize: 0 bytes/workgroup (compile time only)
; SGPRBlocks: 0
; VGPRBlocks: 0
; NumSGPRsForWavesPerEU: 29
; NumVGPRsForWavesPerEU: 12
; NamedBarCnt: 0
; Occupancy: 16
; WaveLimiterHint : 0
; COMPUTE_PGM_RSRC2:SCRATCH_EN: 0
; COMPUTE_PGM_RSRC2:USER_SGPR: 2
; COMPUTE_PGM_RSRC2:TRAP_HANDLER: 0
; COMPUTE_PGM_RSRC2:TGID_X_EN: 1
; COMPUTE_PGM_RSRC2:TGID_Y_EN: 0
; COMPUTE_PGM_RSRC2:TGID_Z_EN: 1
; COMPUTE_PGM_RSRC2:TIDIG_COMP_CNT: 0
	.section	.text._ZL27rocblas_geam_2matrix_deviceILi16ELi16E19rocblas_complex_numIdEPKS1_PS1_Ev18rocblas_operation_iiT1_T2_lllT3_llli,"axG",@progbits,_ZL27rocblas_geam_2matrix_deviceILi16ELi16E19rocblas_complex_numIdEPKS1_PS1_Ev18rocblas_operation_iiT1_T2_lllT3_llli,comdat
	.globl	_ZL27rocblas_geam_2matrix_deviceILi16ELi16E19rocblas_complex_numIdEPKS1_PS1_Ev18rocblas_operation_iiT1_T2_lllT3_llli ; -- Begin function _ZL27rocblas_geam_2matrix_deviceILi16ELi16E19rocblas_complex_numIdEPKS1_PS1_Ev18rocblas_operation_iiT1_T2_lllT3_llli
	.p2align	8
	.type	_ZL27rocblas_geam_2matrix_deviceILi16ELi16E19rocblas_complex_numIdEPKS1_PS1_Ev18rocblas_operation_iiT1_T2_lllT3_llli,@function
_ZL27rocblas_geam_2matrix_deviceILi16ELi16E19rocblas_complex_numIdEPKS1_PS1_Ev18rocblas_operation_iiT1_T2_lllT3_llli: ; @_ZL27rocblas_geam_2matrix_deviceILi16ELi16E19rocblas_complex_numIdEPKS1_PS1_Ev18rocblas_operation_iiT1_T2_lllT3_llli
; %bb.0:
	s_load_b32 s23, s[0:1], 0x60
	s_bfe_u32 s2, ttmp6, 0x40014
	s_lshr_b32 s3, ttmp7, 16
	s_add_co_i32 s2, s2, 1
	s_bfe_u32 s5, ttmp6, 0x40008
	s_mul_i32 s4, s3, s2
	s_getreg_b32 s2, hwreg(HW_REG_IB_STS2, 6, 4)
	s_add_co_i32 s5, s5, s4
	s_cmp_eq_u32 s2, 0
	s_mov_b32 s25, 0
	s_cselect_b32 s24, s3, s5
	s_wait_kmcnt 0x0
	s_cmp_ge_u32 s24, s23
	s_cbranch_scc1 .LBB31_7
; %bb.1:
	s_load_b96 s[20:22], s[0:1], 0x0
	s_bfe_u32 s27, ttmp6, 0x4000c
	s_and_b32 s29, ttmp6, 15
	s_add_co_i32 s27, s27, 1
	v_and_b32_e32 v2, 0x3ff, v0
	s_wait_kmcnt 0x0
	s_add_co_i32 s3, s21, -1
	s_delay_alu instid0(SALU_CYCLE_1) | instskip(NEXT) | instid1(SALU_CYCLE_1)
	s_ashr_i32 s4, s3, 31
	s_lshr_b32 s4, s4, 28
	s_delay_alu instid0(SALU_CYCLE_1) | instskip(NEXT) | instid1(SALU_CYCLE_1)
	s_add_co_i32 s3, s3, s4
	s_ashr_i32 s3, s3, 4
	s_delay_alu instid0(SALU_CYCLE_1) | instskip(SKIP_2) | instid1(SALU_CYCLE_3)
	s_add_co_i32 s28, s3, 1
	s_not_b32 s3, s3
	s_cvt_f32_u32 s4, s28
	v_rcp_iflag_f32_e32 v1, s4
	s_load_b512 s[4:19], s[0:1], 0x10
	v_nop
	s_delay_alu instid0(TRANS32_DEP_1) | instskip(SKIP_2) | instid1(SALU_CYCLE_3)
	v_readfirstlane_b32 s26, v1
	v_bfe_u32 v1, v0, 10, 10
	s_mul_f32 s26, s26, 0x4f7ffffe
	s_cvt_u32_f32 s30, s26
	s_mul_i32 s26, ttmp9, s27
	s_delay_alu instid0(SALU_CYCLE_1) | instskip(NEXT) | instid1(SALU_CYCLE_1)
	s_add_co_i32 s29, s29, s26
	s_mul_i32 s3, s3, s30
	s_wait_kmcnt 0x0
	s_lshl_b64 s[18:19], s[18:19], 4
	s_mul_hi_u32 s3, s30, s3
	s_lshl_b64 s[26:27], s[10:11], 4
	s_add_co_i32 s30, s30, s3
	s_cmp_eq_u32 s2, 0
	s_load_b128 s[0:3], s[0:1], 0x50
	s_cselect_b32 s10, ttmp9, s29
	s_add_nc_u64 s[8:9], s[8:9], s[26:27]
	s_mul_hi_u32 s11, s10, s30
	s_delay_alu instid0(SALU_CYCLE_1) | instskip(SKIP_2) | instid1(SALU_CYCLE_1)
	s_mul_i32 s29, s11, s28
	s_add_co_i32 s30, s11, 1
	s_sub_co_i32 s29, s10, s29
	s_sub_co_i32 s31, s29, s28
	s_cmp_ge_u32 s29, s28
	s_cselect_b32 s11, s30, s11
	s_cselect_b32 s29, s31, s29
	s_add_co_i32 s30, s11, 1
	s_cmp_ge_u32 s29, s28
	s_cselect_b32 s11, s30, s11
	s_delay_alu instid0(SALU_CYCLE_1)
	s_mul_i32 s28, s11, s28
	v_lshl_add_u32 v0, s11, 4, v1
	s_sub_co_i32 s10, s10, s28
	v_cmp_neq_f64_e64 s11, s[6:7], 0
	v_lshl_add_u32 v2, s10, 4, v2
	v_cmp_neq_f64_e64 s10, s[4:5], 0
	v_ashrrev_i32_e32 v1, 31, v0
	v_cmp_gt_i32_e32 vcc_lo, s22, v0
	s_delay_alu instid0(VALU_DEP_4) | instskip(NEXT) | instid1(VALU_DEP_3)
	v_ashrrev_i32_e32 v3, 31, v2
	v_mad_nc_u64_u32 v[6:7], s12, v2, v[0:1]
	s_wait_kmcnt 0x0
	v_mul_u64_e32 v[4:5], s[0:1], v[0:1]
	v_cmp_gt_i32_e64 s0, s21, v2
	v_mad_nc_u64_u32 v[8:9], s12, v0, v[2:3]
	s_delay_alu instid0(VALU_DEP_4) | instskip(NEXT) | instid1(VALU_DEP_2)
	v_mad_u32 v7, s13, v2, v7
	v_mad_u32 v9, s13, v0, v9
	s_delay_alu instid0(VALU_DEP_2) | instskip(NEXT) | instid1(VALU_DEP_2)
	v_mad_u32 v7, s12, v3, v7
	v_mad_u32 v9, s12, v1, v9
	s_or_b32 s1, s10, s11
	s_and_b32 s10, s0, vcc_lo
	s_cmp_eq_u32 s20, 0x6f
	s_add_nc_u64 s[12:13], s[16:17], s[18:19]
	s_cselect_b32 vcc_lo, -1, 0
	s_cmp_eq_u32 s20, 0x71
	v_cndmask_b32_e32 v6, v6, v8, vcc_lo
	v_lshl_add_u64 v[0:1], v[4:5], 4, s[12:13]
	s_cselect_b32 s0, -1, 0
	s_delay_alu instid0(VALU_DEP_3) | instskip(NEXT) | instid1(VALU_DEP_2)
	v_cndmask_b32_e32 v7, v7, v9, vcc_lo
	v_lshl_add_u64 v[4:5], v[2:3], 4, v[0:1]
	s_delay_alu instid0(VALU_DEP_2)
	v_lshl_add_u64 v[6:7], v[6:7], 4, s[8:9]
	s_branch .LBB31_4
.LBB31_2:                               ;   in Loop: Header=BB31_4 Depth=1
	s_mul_u64 s[12:13], s[2:3], s[24:25]
	s_delay_alu instid0(SALU_CYCLE_1)
	v_lshl_add_u64 v[8:9], s[12:13], 4, v[4:5]
	global_store_b128 v[8:9], v[0:3], off
.LBB31_3:                               ;   in Loop: Header=BB31_4 Depth=1
	s_wait_xcnt 0x0
	s_or_b32 exec_lo, exec_lo, s8
	s_add_co_i32 s24, s24, 0x10000
	s_delay_alu instid0(SALU_CYCLE_1)
	s_cmp_lt_u32 s24, s23
	s_cbranch_scc0 .LBB31_7
.LBB31_4:                               ; =>This Inner Loop Header: Depth=1
	s_and_saveexec_b32 s8, s10
	s_cbranch_execz .LBB31_3
; %bb.5:                                ;   in Loop: Header=BB31_4 Depth=1
	v_mov_b64_e32 v[0:1], 0
	v_mov_b64_e32 v[2:3], 0
	s_and_not1_b32 vcc_lo, exec_lo, s1
	s_cbranch_vccnz .LBB31_2
; %bb.6:                                ;   in Loop: Header=BB31_4 Depth=1
	s_mul_u64 s[12:13], s[14:15], s[24:25]
	s_delay_alu instid0(SALU_CYCLE_1) | instskip(SKIP_4) | instid1(VALU_DEP_1)
	v_lshl_add_u64 v[0:1], s[12:13], 4, v[6:7]
	global_load_b128 v[8:11], v[0:1], off
	s_wait_loadcnt 0x0
	s_wait_xcnt 0x0
	v_xor_b32_e32 v0, 0x80000000, v11
	v_cndmask_b32_e64 v11, v11, v0, s0
	s_delay_alu instid0(VALU_DEP_1) | instskip(SKIP_1) | instid1(VALU_DEP_2)
	v_mul_f64_e32 v[0:1], s[6:7], v[10:11]
	v_mul_f64_e32 v[2:3], s[4:5], v[10:11]
	v_fma_f64 v[0:1], s[4:5], v[8:9], -v[0:1]
	s_delay_alu instid0(VALU_DEP_2)
	v_fmac_f64_e32 v[2:3], s[6:7], v[8:9]
	s_branch .LBB31_2
.LBB31_7:
	s_endpgm
	.section	.rodata,"a",@progbits
	.p2align	6, 0x0
	.amdhsa_kernel _ZL27rocblas_geam_2matrix_deviceILi16ELi16E19rocblas_complex_numIdEPKS1_PS1_Ev18rocblas_operation_iiT1_T2_lllT3_llli
		.amdhsa_group_segment_fixed_size 0
		.amdhsa_private_segment_fixed_size 0
		.amdhsa_kernarg_size 100
		.amdhsa_user_sgpr_count 2
		.amdhsa_user_sgpr_dispatch_ptr 0
		.amdhsa_user_sgpr_queue_ptr 0
		.amdhsa_user_sgpr_kernarg_segment_ptr 1
		.amdhsa_user_sgpr_dispatch_id 0
		.amdhsa_user_sgpr_kernarg_preload_length 0
		.amdhsa_user_sgpr_kernarg_preload_offset 0
		.amdhsa_user_sgpr_private_segment_size 0
		.amdhsa_wavefront_size32 1
		.amdhsa_uses_dynamic_stack 0
		.amdhsa_enable_private_segment 0
		.amdhsa_system_sgpr_workgroup_id_x 1
		.amdhsa_system_sgpr_workgroup_id_y 0
		.amdhsa_system_sgpr_workgroup_id_z 1
		.amdhsa_system_sgpr_workgroup_info 0
		.amdhsa_system_vgpr_workitem_id 1
		.amdhsa_next_free_vgpr 12
		.amdhsa_next_free_sgpr 32
		.amdhsa_named_barrier_count 0
		.amdhsa_reserve_vcc 1
		.amdhsa_float_round_mode_32 0
		.amdhsa_float_round_mode_16_64 0
		.amdhsa_float_denorm_mode_32 3
		.amdhsa_float_denorm_mode_16_64 3
		.amdhsa_fp16_overflow 0
		.amdhsa_memory_ordered 1
		.amdhsa_forward_progress 1
		.amdhsa_inst_pref_size 6
		.amdhsa_round_robin_scheduling 0
		.amdhsa_exception_fp_ieee_invalid_op 0
		.amdhsa_exception_fp_denorm_src 0
		.amdhsa_exception_fp_ieee_div_zero 0
		.amdhsa_exception_fp_ieee_overflow 0
		.amdhsa_exception_fp_ieee_underflow 0
		.amdhsa_exception_fp_ieee_inexact 0
		.amdhsa_exception_int_div_zero 0
	.end_amdhsa_kernel
	.section	.text._ZL27rocblas_geam_2matrix_deviceILi16ELi16E19rocblas_complex_numIdEPKS1_PS1_Ev18rocblas_operation_iiT1_T2_lllT3_llli,"axG",@progbits,_ZL27rocblas_geam_2matrix_deviceILi16ELi16E19rocblas_complex_numIdEPKS1_PS1_Ev18rocblas_operation_iiT1_T2_lllT3_llli,comdat
.Lfunc_end31:
	.size	_ZL27rocblas_geam_2matrix_deviceILi16ELi16E19rocblas_complex_numIdEPKS1_PS1_Ev18rocblas_operation_iiT1_T2_lllT3_llli, .Lfunc_end31-_ZL27rocblas_geam_2matrix_deviceILi16ELi16E19rocblas_complex_numIdEPKS1_PS1_Ev18rocblas_operation_iiT1_T2_lllT3_llli
                                        ; -- End function
	.set _ZL27rocblas_geam_2matrix_deviceILi16ELi16E19rocblas_complex_numIdEPKS1_PS1_Ev18rocblas_operation_iiT1_T2_lllT3_llli.num_vgpr, 12
	.set _ZL27rocblas_geam_2matrix_deviceILi16ELi16E19rocblas_complex_numIdEPKS1_PS1_Ev18rocblas_operation_iiT1_T2_lllT3_llli.num_agpr, 0
	.set _ZL27rocblas_geam_2matrix_deviceILi16ELi16E19rocblas_complex_numIdEPKS1_PS1_Ev18rocblas_operation_iiT1_T2_lllT3_llli.numbered_sgpr, 32
	.set _ZL27rocblas_geam_2matrix_deviceILi16ELi16E19rocblas_complex_numIdEPKS1_PS1_Ev18rocblas_operation_iiT1_T2_lllT3_llli.num_named_barrier, 0
	.set _ZL27rocblas_geam_2matrix_deviceILi16ELi16E19rocblas_complex_numIdEPKS1_PS1_Ev18rocblas_operation_iiT1_T2_lllT3_llli.private_seg_size, 0
	.set _ZL27rocblas_geam_2matrix_deviceILi16ELi16E19rocblas_complex_numIdEPKS1_PS1_Ev18rocblas_operation_iiT1_T2_lllT3_llli.uses_vcc, 1
	.set _ZL27rocblas_geam_2matrix_deviceILi16ELi16E19rocblas_complex_numIdEPKS1_PS1_Ev18rocblas_operation_iiT1_T2_lllT3_llli.uses_flat_scratch, 0
	.set _ZL27rocblas_geam_2matrix_deviceILi16ELi16E19rocblas_complex_numIdEPKS1_PS1_Ev18rocblas_operation_iiT1_T2_lllT3_llli.has_dyn_sized_stack, 0
	.set _ZL27rocblas_geam_2matrix_deviceILi16ELi16E19rocblas_complex_numIdEPKS1_PS1_Ev18rocblas_operation_iiT1_T2_lllT3_llli.has_recursion, 0
	.set _ZL27rocblas_geam_2matrix_deviceILi16ELi16E19rocblas_complex_numIdEPKS1_PS1_Ev18rocblas_operation_iiT1_T2_lllT3_llli.has_indirect_call, 0
	.section	.AMDGPU.csdata,"",@progbits
; Kernel info:
; codeLenInByte = 676
; TotalNumSgprs: 34
; NumVgprs: 12
; ScratchSize: 0
; MemoryBound: 0
; FloatMode: 240
; IeeeMode: 1
; LDSByteSize: 0 bytes/workgroup (compile time only)
; SGPRBlocks: 0
; VGPRBlocks: 0
; NumSGPRsForWavesPerEU: 34
; NumVGPRsForWavesPerEU: 12
; NamedBarCnt: 0
; Occupancy: 16
; WaveLimiterHint : 0
; COMPUTE_PGM_RSRC2:SCRATCH_EN: 0
; COMPUTE_PGM_RSRC2:USER_SGPR: 2
; COMPUTE_PGM_RSRC2:TRAP_HANDLER: 0
; COMPUTE_PGM_RSRC2:TGID_X_EN: 1
; COMPUTE_PGM_RSRC2:TGID_Y_EN: 0
; COMPUTE_PGM_RSRC2:TGID_Z_EN: 1
; COMPUTE_PGM_RSRC2:TIDIG_COMP_CNT: 1
	.section	.text._ZL22rocblas_geam_1D_deviceILi256E19rocblas_complex_numIdEPKS1_PS1_EvmT0_T1_llS5_S6_llT2_lli,"axG",@progbits,_ZL22rocblas_geam_1D_deviceILi256E19rocblas_complex_numIdEPKS1_PS1_EvmT0_T1_llS5_S6_llT2_lli,comdat
	.globl	_ZL22rocblas_geam_1D_deviceILi256E19rocblas_complex_numIdEPKS1_PS1_EvmT0_T1_llS5_S6_llT2_lli ; -- Begin function _ZL22rocblas_geam_1D_deviceILi256E19rocblas_complex_numIdEPKS1_PS1_EvmT0_T1_llS5_S6_llT2_lli
	.p2align	8
	.type	_ZL22rocblas_geam_1D_deviceILi256E19rocblas_complex_numIdEPKS1_PS1_EvmT0_T1_llS5_S6_llT2_lli,@function
_ZL22rocblas_geam_1D_deviceILi256E19rocblas_complex_numIdEPKS1_PS1_EvmT0_T1_llS5_S6_llT2_lli: ; @_ZL22rocblas_geam_1D_deviceILi256E19rocblas_complex_numIdEPKS1_PS1_EvmT0_T1_llS5_S6_llT2_lli
; %bb.0:
	s_load_b32 s33, s[0:1], 0x70
	s_bfe_u32 s2, ttmp6, 0x40014
	s_lshr_b32 s3, ttmp7, 16
	s_add_co_i32 s2, s2, 1
	s_bfe_u32 s4, ttmp6, 0x40008
	s_mul_i32 s2, s3, s2
	s_getreg_b32 s34, hwreg(HW_REG_IB_STS2, 6, 4)
	s_add_co_i32 s4, s4, s2
	s_cmp_eq_u32 s34, 0
	s_cselect_b32 s2, s3, s4
	s_mov_b32 s3, 0
	s_wait_kmcnt 0x0
	s_cmp_ge_u32 s2, s33
	s_cbranch_scc1 .LBB32_11
; %bb.1:
	s_clause 0x3
	s_load_b512 s[4:19], s[0:1], 0x0
	s_load_b32 s35, s[0:1], 0x84
	s_load_b128 s[28:31], s[0:1], 0x60
	s_load_b256 s[20:27], s[0:1], 0x40
	s_wait_xcnt 0x0
	s_bfe_u32 s0, ttmp6, 0x4000c
	s_and_b32 s1, ttmp6, 15
	s_add_co_i32 s0, s0, 1
	v_mov_b32_e32 v1, 0
	s_mul_i32 s0, ttmp9, s0
	s_delay_alu instid0(SALU_CYCLE_1)
	s_add_co_i32 s1, s1, s0
	s_wait_kmcnt 0x0
	v_cmp_neq_f64_e64 s36, s[16:17], 0
	v_cmp_neq_f64_e64 s37, s[18:19], 0
	;; [unrolled: 1-line block ×4, first 2 shown]
	s_and_b32 s0, s35, 0xffff
	s_cmp_eq_u32 s34, 0
	s_cselect_b32 s1, ttmp9, s1
	s_lshl_b64 s[12:13], s[12:13], 4
	v_mad_nc_u64_u32 v[0:1], s0, s1, v[0:1]
	s_lshl_b64 s[0:1], s[28:29], 4
	s_lshl_b64 s[22:23], s[22:23], 4
	s_add_nc_u64 s[26:27], s[26:27], s[0:1]
	s_add_nc_u64 s[10:11], s[10:11], s[12:13]
	;; [unrolled: 1-line block ×3, first 2 shown]
	s_delay_alu instid0(VALU_DEP_1) | instskip(SKIP_1) | instid1(VALU_DEP_2)
	v_lshlrev_b64_e32 v[2:3], 4, v[0:1]
	v_cmp_gt_u64_e64 s0, s[4:5], v[0:1]
	v_add_nc_u64_e32 v[4:5], s[12:13], v[2:3]
	v_add_nc_u64_e32 v[6:7], s[10:11], v[2:3]
	;; [unrolled: 1-line block ×3, first 2 shown]
	s_or_b32 s1, s36, s37
	s_or_b32 s4, s38, s39
	v_cndmask_b32_e64 v14, 0, 1, s1
	v_cndmask_b32_e64 v15, 0, 1, s4
	s_or_b32 s1, s1, s4
	s_branch .LBB32_5
.LBB32_2:                               ;   in Loop: Header=BB32_5 Depth=1
	s_delay_alu instid0(VALU_DEP_1) | instskip(NEXT) | instid1(VALU_DEP_2)
	v_add_f64_e32 v[0:1], v[0:1], v[12:13]
	v_add_f64_e32 v[2:3], v[10:11], v[2:3]
.LBB32_3:                               ;   in Loop: Header=BB32_5 Depth=1
	s_mul_u64 s[10:11], s[30:31], s[2:3]
	s_delay_alu instid0(SALU_CYCLE_1)
	v_lshl_add_u64 v[10:11], s[10:11], 4, v[8:9]
	global_store_b128 v[10:11], v[0:3], off
.LBB32_4:                               ;   in Loop: Header=BB32_5 Depth=1
	s_wait_xcnt 0x0
	s_or_b32 exec_lo, exec_lo, s4
	s_add_co_i32 s2, s2, 0x10000
	s_delay_alu instid0(SALU_CYCLE_1)
	s_cmp_lt_u32 s2, s33
	s_cbranch_scc0 .LBB32_11
.LBB32_5:                               ; =>This Inner Loop Header: Depth=1
	s_and_saveexec_b32 s4, s0
	s_cbranch_execz .LBB32_4
; %bb.6:                                ;   in Loop: Header=BB32_5 Depth=1
	v_mov_b64_e32 v[2:3], 0
	v_mov_b64_e32 v[0:1], 0
	s_and_not1_b32 vcc_lo, exec_lo, s1
	s_cbranch_vccnz .LBB32_3
; %bb.7:                                ;   in Loop: Header=BB32_5 Depth=1
	v_mov_b64_e32 v[2:3], 0
	v_cmp_ne_u32_e32 vcc_lo, 1, v14
	v_mov_b64_e32 v[10:11], 0
	v_mov_b64_e32 v[0:1], 0
	s_cbranch_vccnz .LBB32_9
; %bb.8:                                ;   in Loop: Header=BB32_5 Depth=1
	s_mul_u64 s[10:11], s[24:25], s[2:3]
	s_delay_alu instid0(SALU_CYCLE_1)
	v_lshl_add_u64 v[0:1], s[10:11], 4, v[4:5]
	global_load_b128 v[16:19], v[0:1], off
	s_wait_loadcnt 0x0
	s_wait_xcnt 0x0
	v_mul_f64_e32 v[0:1], s[18:19], v[18:19]
	v_mul_f64_e32 v[10:11], s[16:17], v[18:19]
	s_delay_alu instid0(VALU_DEP_2) | instskip(NEXT) | instid1(VALU_DEP_2)
	v_fma_f64 v[0:1], s[16:17], v[16:17], -v[0:1]
	v_fmac_f64_e32 v[10:11], s[18:19], v[16:17]
.LBB32_9:                               ;   in Loop: Header=BB32_5 Depth=1
	v_cmp_ne_u32_e32 vcc_lo, 1, v15
	v_mov_b64_e32 v[12:13], 0
	s_cbranch_vccnz .LBB32_2
; %bb.10:                               ;   in Loop: Header=BB32_5 Depth=1
	s_mul_u64 s[10:11], s[14:15], s[2:3]
	s_delay_alu instid0(SALU_CYCLE_1)
	v_lshl_add_u64 v[2:3], s[10:11], 4, v[6:7]
	global_load_b128 v[16:19], v[2:3], off
	s_wait_loadcnt 0x0
	v_mul_f64_e32 v[12:13], s[8:9], v[18:19]
	s_wait_xcnt 0x0
	v_mul_f64_e32 v[2:3], s[6:7], v[18:19]
	s_delay_alu instid0(VALU_DEP_2) | instskip(NEXT) | instid1(VALU_DEP_2)
	v_fma_f64 v[12:13], s[6:7], v[16:17], -v[12:13]
	v_fmac_f64_e32 v[2:3], s[8:9], v[16:17]
	s_branch .LBB32_2
.LBB32_11:
	s_endpgm
	.section	.rodata,"a",@progbits
	.p2align	6, 0x0
	.amdhsa_kernel _ZL22rocblas_geam_1D_deviceILi256E19rocblas_complex_numIdEPKS1_PS1_EvmT0_T1_llS5_S6_llT2_lli
		.amdhsa_group_segment_fixed_size 0
		.amdhsa_private_segment_fixed_size 0
		.amdhsa_kernarg_size 376
		.amdhsa_user_sgpr_count 2
		.amdhsa_user_sgpr_dispatch_ptr 0
		.amdhsa_user_sgpr_queue_ptr 0
		.amdhsa_user_sgpr_kernarg_segment_ptr 1
		.amdhsa_user_sgpr_dispatch_id 0
		.amdhsa_user_sgpr_kernarg_preload_length 0
		.amdhsa_user_sgpr_kernarg_preload_offset 0
		.amdhsa_user_sgpr_private_segment_size 0
		.amdhsa_wavefront_size32 1
		.amdhsa_uses_dynamic_stack 0
		.amdhsa_enable_private_segment 0
		.amdhsa_system_sgpr_workgroup_id_x 1
		.amdhsa_system_sgpr_workgroup_id_y 0
		.amdhsa_system_sgpr_workgroup_id_z 1
		.amdhsa_system_sgpr_workgroup_info 0
		.amdhsa_system_vgpr_workitem_id 0
		.amdhsa_next_free_vgpr 20
		.amdhsa_next_free_sgpr 40
		.amdhsa_named_barrier_count 0
		.amdhsa_reserve_vcc 1
		.amdhsa_float_round_mode_32 0
		.amdhsa_float_round_mode_16_64 0
		.amdhsa_float_denorm_mode_32 3
		.amdhsa_float_denorm_mode_16_64 3
		.amdhsa_fp16_overflow 0
		.amdhsa_memory_ordered 1
		.amdhsa_forward_progress 1
		.amdhsa_inst_pref_size 5
		.amdhsa_round_robin_scheduling 0
		.amdhsa_exception_fp_ieee_invalid_op 0
		.amdhsa_exception_fp_denorm_src 0
		.amdhsa_exception_fp_ieee_div_zero 0
		.amdhsa_exception_fp_ieee_overflow 0
		.amdhsa_exception_fp_ieee_underflow 0
		.amdhsa_exception_fp_ieee_inexact 0
		.amdhsa_exception_int_div_zero 0
	.end_amdhsa_kernel
	.section	.text._ZL22rocblas_geam_1D_deviceILi256E19rocblas_complex_numIdEPKS1_PS1_EvmT0_T1_llS5_S6_llT2_lli,"axG",@progbits,_ZL22rocblas_geam_1D_deviceILi256E19rocblas_complex_numIdEPKS1_PS1_EvmT0_T1_llS5_S6_llT2_lli,comdat
.Lfunc_end32:
	.size	_ZL22rocblas_geam_1D_deviceILi256E19rocblas_complex_numIdEPKS1_PS1_EvmT0_T1_llS5_S6_llT2_lli, .Lfunc_end32-_ZL22rocblas_geam_1D_deviceILi256E19rocblas_complex_numIdEPKS1_PS1_EvmT0_T1_llS5_S6_llT2_lli
                                        ; -- End function
	.set _ZL22rocblas_geam_1D_deviceILi256E19rocblas_complex_numIdEPKS1_PS1_EvmT0_T1_llS5_S6_llT2_lli.num_vgpr, 20
	.set _ZL22rocblas_geam_1D_deviceILi256E19rocblas_complex_numIdEPKS1_PS1_EvmT0_T1_llS5_S6_llT2_lli.num_agpr, 0
	.set _ZL22rocblas_geam_1D_deviceILi256E19rocblas_complex_numIdEPKS1_PS1_EvmT0_T1_llS5_S6_llT2_lli.numbered_sgpr, 40
	.set _ZL22rocblas_geam_1D_deviceILi256E19rocblas_complex_numIdEPKS1_PS1_EvmT0_T1_llS5_S6_llT2_lli.num_named_barrier, 0
	.set _ZL22rocblas_geam_1D_deviceILi256E19rocblas_complex_numIdEPKS1_PS1_EvmT0_T1_llS5_S6_llT2_lli.private_seg_size, 0
	.set _ZL22rocblas_geam_1D_deviceILi256E19rocblas_complex_numIdEPKS1_PS1_EvmT0_T1_llS5_S6_llT2_lli.uses_vcc, 1
	.set _ZL22rocblas_geam_1D_deviceILi256E19rocblas_complex_numIdEPKS1_PS1_EvmT0_T1_llS5_S6_llT2_lli.uses_flat_scratch, 0
	.set _ZL22rocblas_geam_1D_deviceILi256E19rocblas_complex_numIdEPKS1_PS1_EvmT0_T1_llS5_S6_llT2_lli.has_dyn_sized_stack, 0
	.set _ZL22rocblas_geam_1D_deviceILi256E19rocblas_complex_numIdEPKS1_PS1_EvmT0_T1_llS5_S6_llT2_lli.has_recursion, 0
	.set _ZL22rocblas_geam_1D_deviceILi256E19rocblas_complex_numIdEPKS1_PS1_EvmT0_T1_llS5_S6_llT2_lli.has_indirect_call, 0
	.section	.AMDGPU.csdata,"",@progbits
; Kernel info:
; codeLenInByte = 536
; TotalNumSgprs: 42
; NumVgprs: 20
; ScratchSize: 0
; MemoryBound: 0
; FloatMode: 240
; IeeeMode: 1
; LDSByteSize: 0 bytes/workgroup (compile time only)
; SGPRBlocks: 0
; VGPRBlocks: 1
; NumSGPRsForWavesPerEU: 42
; NumVGPRsForWavesPerEU: 20
; NamedBarCnt: 0
; Occupancy: 16
; WaveLimiterHint : 0
; COMPUTE_PGM_RSRC2:SCRATCH_EN: 0
; COMPUTE_PGM_RSRC2:USER_SGPR: 2
; COMPUTE_PGM_RSRC2:TRAP_HANDLER: 0
; COMPUTE_PGM_RSRC2:TGID_X_EN: 1
; COMPUTE_PGM_RSRC2:TGID_Y_EN: 0
; COMPUTE_PGM_RSRC2:TGID_Z_EN: 1
; COMPUTE_PGM_RSRC2:TIDIG_COMP_CNT: 0
	.section	.text._ZL22rocblas_geam_1D_deviceILi256EPK19rocblas_complex_numIdES3_PS1_EvmT0_T1_llS5_S6_llT2_lli,"axG",@progbits,_ZL22rocblas_geam_1D_deviceILi256EPK19rocblas_complex_numIdES3_PS1_EvmT0_T1_llS5_S6_llT2_lli,comdat
	.globl	_ZL22rocblas_geam_1D_deviceILi256EPK19rocblas_complex_numIdES3_PS1_EvmT0_T1_llS5_S6_llT2_lli ; -- Begin function _ZL22rocblas_geam_1D_deviceILi256EPK19rocblas_complex_numIdES3_PS1_EvmT0_T1_llS5_S6_llT2_lli
	.p2align	8
	.type	_ZL22rocblas_geam_1D_deviceILi256EPK19rocblas_complex_numIdES3_PS1_EvmT0_T1_llS5_S6_llT2_lli,@function
_ZL22rocblas_geam_1D_deviceILi256EPK19rocblas_complex_numIdES3_PS1_EvmT0_T1_llS5_S6_llT2_lli: ; @_ZL22rocblas_geam_1D_deviceILi256EPK19rocblas_complex_numIdES3_PS1_EvmT0_T1_llS5_S6_llT2_lli
; %bb.0:
	s_load_b32 s30, s[0:1], 0x60
	s_bfe_u32 s2, ttmp6, 0x40014
	s_lshr_b32 s3, ttmp7, 16
	s_add_co_i32 s2, s2, 1
	s_bfe_u32 s5, ttmp6, 0x40008
	s_mul_i32 s4, s3, s2
	s_getreg_b32 s2, hwreg(HW_REG_IB_STS2, 6, 4)
	s_add_co_i32 s5, s5, s4
	s_cmp_eq_u32 s2, 0
	s_mov_b32 s29, 0
	s_cselect_b32 s28, s3, s5
	s_wait_kmcnt 0x0
	s_cmp_ge_u32 s28, s30
	s_cbranch_scc1 .LBB33_13
; %bb.1:
	s_clause 0x1
	s_load_b32 s3, s[0:1], 0x74
	s_load_b512 s[4:19], s[0:1], 0x0
	s_bfe_u32 s31, ttmp6, 0x4000c
	s_load_b256 s[20:27], s[0:1], 0x40
	s_add_co_i32 s31, s31, 1
	s_wait_xcnt 0x0
	s_and_b32 s0, ttmp6, 15
	s_mul_i32 s1, ttmp9, s31
	v_mov_b32_e32 v1, 0
	s_add_co_i32 s0, s0, s1
	s_wait_kmcnt 0x0
	s_and_b32 s1, s3, 0xffff
	s_cmp_eq_u32 s2, 0
	s_cselect_b32 s0, ttmp9, s0
	s_lshl_b64 s[2:3], s[10:11], 4
	v_mad_nc_u64_u32 v[2:3], s1, s0, v[0:1]
	s_lshl_b64 s[0:1], s[24:25], 4
	s_lshl_b64 s[10:11], s[18:19], 4
	s_add_nc_u64 s[18:19], s[22:23], s[0:1]
	s_add_nc_u64 s[2:3], s[8:9], s[2:3]
	;; [unrolled: 1-line block ×3, first 2 shown]
	s_delay_alu instid0(VALU_DEP_1) | instskip(SKIP_1) | instid1(VALU_DEP_2)
	v_lshlrev_b64_e32 v[4:5], 4, v[2:3]
	v_cmp_gt_u64_e64 s0, s[4:5], v[2:3]
	v_add_nc_u64_e32 v[14:15], s[8:9], v[4:5]
	v_add_nc_u64_e32 v[16:17], s[2:3], v[4:5]
	;; [unrolled: 1-line block ×3, first 2 shown]
	s_branch .LBB33_5
.LBB33_2:                               ;   in Loop: Header=BB33_5 Depth=1
	s_delay_alu instid0(VALU_DEP_1) | instskip(NEXT) | instid1(VALU_DEP_2)
	v_add_f64_e32 v[10:11], v[10:11], v[6:7]
	v_add_f64_e32 v[12:13], v[20:21], v[12:13]
.LBB33_3:                               ;   in Loop: Header=BB33_5 Depth=1
	s_mul_u64 s[2:3], s[26:27], s[28:29]
	s_delay_alu instid0(SALU_CYCLE_1)
	v_lshl_add_u64 v[2:3], s[2:3], 4, v[18:19]
	global_store_b128 v[2:3], v[10:13], off
.LBB33_4:                               ;   in Loop: Header=BB33_5 Depth=1
	s_wait_xcnt 0x0
	s_or_b32 exec_lo, exec_lo, s4
	s_add_co_i32 s28, s28, 0x10000
	s_delay_alu instid0(SALU_CYCLE_1)
	s_cmp_lt_u32 s28, s30
	s_cbranch_scc0 .LBB33_13
.LBB33_5:                               ; =>This Inner Loop Header: Depth=1
	s_delay_alu instid0(VALU_DEP_4)
	s_and_saveexec_b32 s4, s0
	s_cbranch_execz .LBB33_4
; %bb.6:                                ;   in Loop: Header=BB33_5 Depth=1
	s_clause 0x1
	global_load_b128 v[2:5], v1, s[6:7]
	global_load_b128 v[6:9], v1, s[14:15]
	s_wait_loadcnt 0x1
	v_cmp_eq_f64_e32 vcc_lo, 0, v[2:3]
	v_cmp_eq_f64_e64 s3, 0, v[4:5]
	s_wait_loadcnt 0x0
	v_cmp_neq_f64_e64 s1, 0, v[6:7]
	v_cmp_neq_f64_e64 s2, 0, v[8:9]
	s_and_b32 s3, vcc_lo, s3
	s_delay_alu instid0(SALU_CYCLE_1)
	s_and_not1_b32 vcc_lo, exec_lo, s3
	s_mov_b32 s3, -1
	s_cbranch_vccnz .LBB33_8
; %bb.7:                                ;   in Loop: Header=BB33_5 Depth=1
	s_or_b32 s3, s1, s2
.LBB33_8:                               ;   in Loop: Header=BB33_5 Depth=1
	v_mov_b64_e32 v[12:13], 0
	v_mov_b64_e32 v[10:11], 0
	s_and_not1_b32 vcc_lo, exec_lo, s3
	s_cbranch_vccnz .LBB33_3
; %bb.9:                                ;   in Loop: Header=BB33_5 Depth=1
	v_cmp_neq_f64_e32 vcc_lo, 0, v[6:7]
	v_cmp_neq_f64_e64 s1, 0, v[8:9]
	v_mov_b64_e32 v[12:13], 0
	v_mov_b64_e32 v[20:21], 0
	;; [unrolled: 1-line block ×3, first 2 shown]
	s_or_b32 s1, vcc_lo, s1
	s_delay_alu instid0(SALU_CYCLE_1)
	s_and_not1_b32 vcc_lo, exec_lo, s1
	s_cbranch_vccnz .LBB33_11
; %bb.10:                               ;   in Loop: Header=BB33_5 Depth=1
	s_mul_u64 s[2:3], s[20:21], s[28:29]
	s_delay_alu instid0(SALU_CYCLE_1)
	v_lshl_add_u64 v[10:11], s[2:3], 4, v[14:15]
	global_load_b128 v[22:25], v[10:11], off
	s_wait_loadcnt 0x0
	s_wait_xcnt 0x0
	v_mul_f64_e32 v[10:11], v[8:9], v[24:25]
	v_mul_f64_e32 v[20:21], v[6:7], v[24:25]
	s_delay_alu instid0(VALU_DEP_2) | instskip(NEXT) | instid1(VALU_DEP_2)
	v_fma_f64 v[10:11], v[6:7], v[22:23], -v[10:11]
	v_fmac_f64_e32 v[20:21], v[8:9], v[22:23]
.LBB33_11:                              ;   in Loop: Header=BB33_5 Depth=1
	v_cmp_neq_f64_e32 vcc_lo, 0, v[2:3]
	v_cmp_neq_f64_e64 s1, 0, v[4:5]
	v_mov_b64_e32 v[6:7], 0
	s_or_b32 s1, vcc_lo, s1
	s_delay_alu instid0(SALU_CYCLE_1)
	s_and_not1_b32 vcc_lo, exec_lo, s1
	s_cbranch_vccnz .LBB33_2
; %bb.12:                               ;   in Loop: Header=BB33_5 Depth=1
	s_mul_u64 s[2:3], s[12:13], s[28:29]
	s_delay_alu instid0(SALU_CYCLE_1)
	v_lshl_add_u64 v[6:7], s[2:3], 4, v[16:17]
	global_load_b128 v[22:25], v[6:7], off
	s_wait_loadcnt 0x0
	s_wait_xcnt 0x0
	v_mul_f64_e32 v[6:7], v[4:5], v[24:25]
	v_mul_f64_e32 v[12:13], v[2:3], v[24:25]
	s_delay_alu instid0(VALU_DEP_2) | instskip(NEXT) | instid1(VALU_DEP_2)
	v_fma_f64 v[6:7], v[2:3], v[22:23], -v[6:7]
	v_fmac_f64_e32 v[12:13], v[4:5], v[22:23]
	s_branch .LBB33_2
.LBB33_13:
	s_endpgm
	.section	.rodata,"a",@progbits
	.p2align	6, 0x0
	.amdhsa_kernel _ZL22rocblas_geam_1D_deviceILi256EPK19rocblas_complex_numIdES3_PS1_EvmT0_T1_llS5_S6_llT2_lli
		.amdhsa_group_segment_fixed_size 0
		.amdhsa_private_segment_fixed_size 0
		.amdhsa_kernarg_size 360
		.amdhsa_user_sgpr_count 2
		.amdhsa_user_sgpr_dispatch_ptr 0
		.amdhsa_user_sgpr_queue_ptr 0
		.amdhsa_user_sgpr_kernarg_segment_ptr 1
		.amdhsa_user_sgpr_dispatch_id 0
		.amdhsa_user_sgpr_kernarg_preload_length 0
		.amdhsa_user_sgpr_kernarg_preload_offset 0
		.amdhsa_user_sgpr_private_segment_size 0
		.amdhsa_wavefront_size32 1
		.amdhsa_uses_dynamic_stack 0
		.amdhsa_enable_private_segment 0
		.amdhsa_system_sgpr_workgroup_id_x 1
		.amdhsa_system_sgpr_workgroup_id_y 0
		.amdhsa_system_sgpr_workgroup_id_z 1
		.amdhsa_system_sgpr_workgroup_info 0
		.amdhsa_system_vgpr_workitem_id 0
		.amdhsa_next_free_vgpr 26
		.amdhsa_next_free_sgpr 32
		.amdhsa_named_barrier_count 0
		.amdhsa_reserve_vcc 1
		.amdhsa_float_round_mode_32 0
		.amdhsa_float_round_mode_16_64 0
		.amdhsa_float_denorm_mode_32 3
		.amdhsa_float_denorm_mode_16_64 3
		.amdhsa_fp16_overflow 0
		.amdhsa_memory_ordered 1
		.amdhsa_forward_progress 1
		.amdhsa_inst_pref_size 5
		.amdhsa_round_robin_scheduling 0
		.amdhsa_exception_fp_ieee_invalid_op 0
		.amdhsa_exception_fp_denorm_src 0
		.amdhsa_exception_fp_ieee_div_zero 0
		.amdhsa_exception_fp_ieee_overflow 0
		.amdhsa_exception_fp_ieee_underflow 0
		.amdhsa_exception_fp_ieee_inexact 0
		.amdhsa_exception_int_div_zero 0
	.end_amdhsa_kernel
	.section	.text._ZL22rocblas_geam_1D_deviceILi256EPK19rocblas_complex_numIdES3_PS1_EvmT0_T1_llS5_S6_llT2_lli,"axG",@progbits,_ZL22rocblas_geam_1D_deviceILi256EPK19rocblas_complex_numIdES3_PS1_EvmT0_T1_llS5_S6_llT2_lli,comdat
.Lfunc_end33:
	.size	_ZL22rocblas_geam_1D_deviceILi256EPK19rocblas_complex_numIdES3_PS1_EvmT0_T1_llS5_S6_llT2_lli, .Lfunc_end33-_ZL22rocblas_geam_1D_deviceILi256EPK19rocblas_complex_numIdES3_PS1_EvmT0_T1_llS5_S6_llT2_lli
                                        ; -- End function
	.set _ZL22rocblas_geam_1D_deviceILi256EPK19rocblas_complex_numIdES3_PS1_EvmT0_T1_llS5_S6_llT2_lli.num_vgpr, 26
	.set _ZL22rocblas_geam_1D_deviceILi256EPK19rocblas_complex_numIdES3_PS1_EvmT0_T1_llS5_S6_llT2_lli.num_agpr, 0
	.set _ZL22rocblas_geam_1D_deviceILi256EPK19rocblas_complex_numIdES3_PS1_EvmT0_T1_llS5_S6_llT2_lli.numbered_sgpr, 32
	.set _ZL22rocblas_geam_1D_deviceILi256EPK19rocblas_complex_numIdES3_PS1_EvmT0_T1_llS5_S6_llT2_lli.num_named_barrier, 0
	.set _ZL22rocblas_geam_1D_deviceILi256EPK19rocblas_complex_numIdES3_PS1_EvmT0_T1_llS5_S6_llT2_lli.private_seg_size, 0
	.set _ZL22rocblas_geam_1D_deviceILi256EPK19rocblas_complex_numIdES3_PS1_EvmT0_T1_llS5_S6_llT2_lli.uses_vcc, 1
	.set _ZL22rocblas_geam_1D_deviceILi256EPK19rocblas_complex_numIdES3_PS1_EvmT0_T1_llS5_S6_llT2_lli.uses_flat_scratch, 0
	.set _ZL22rocblas_geam_1D_deviceILi256EPK19rocblas_complex_numIdES3_PS1_EvmT0_T1_llS5_S6_llT2_lli.has_dyn_sized_stack, 0
	.set _ZL22rocblas_geam_1D_deviceILi256EPK19rocblas_complex_numIdES3_PS1_EvmT0_T1_llS5_S6_llT2_lli.has_recursion, 0
	.set _ZL22rocblas_geam_1D_deviceILi256EPK19rocblas_complex_numIdES3_PS1_EvmT0_T1_llS5_S6_llT2_lli.has_indirect_call, 0
	.section	.AMDGPU.csdata,"",@progbits
; Kernel info:
; codeLenInByte = 596
; TotalNumSgprs: 34
; NumVgprs: 26
; ScratchSize: 0
; MemoryBound: 1
; FloatMode: 240
; IeeeMode: 1
; LDSByteSize: 0 bytes/workgroup (compile time only)
; SGPRBlocks: 0
; VGPRBlocks: 1
; NumSGPRsForWavesPerEU: 34
; NumVGPRsForWavesPerEU: 26
; NamedBarCnt: 0
; Occupancy: 16
; WaveLimiterHint : 0
; COMPUTE_PGM_RSRC2:SCRATCH_EN: 0
; COMPUTE_PGM_RSRC2:USER_SGPR: 2
; COMPUTE_PGM_RSRC2:TRAP_HANDLER: 0
; COMPUTE_PGM_RSRC2:TGID_X_EN: 1
; COMPUTE_PGM_RSRC2:TGID_Y_EN: 0
; COMPUTE_PGM_RSRC2:TGID_Z_EN: 1
; COMPUTE_PGM_RSRC2:TIDIG_COMP_CNT: 0
	.section	.text._ZL19rocblas_geam_deviceILi16ELi16E19rocblas_complex_numIdEPKS1_PS1_Ev18rocblas_operation_S5_iiT1_T2_lllS6_S7_lllT3_llli,"axG",@progbits,_ZL19rocblas_geam_deviceILi16ELi16E19rocblas_complex_numIdEPKS1_PS1_Ev18rocblas_operation_S5_iiT1_T2_lllS6_S7_lllT3_llli,comdat
	.globl	_ZL19rocblas_geam_deviceILi16ELi16E19rocblas_complex_numIdEPKS1_PS1_Ev18rocblas_operation_S5_iiT1_T2_lllS6_S7_lllT3_llli ; -- Begin function _ZL19rocblas_geam_deviceILi16ELi16E19rocblas_complex_numIdEPKS1_PS1_Ev18rocblas_operation_S5_iiT1_T2_lllS6_S7_lllT3_llli
	.p2align	8
	.type	_ZL19rocblas_geam_deviceILi16ELi16E19rocblas_complex_numIdEPKS1_PS1_Ev18rocblas_operation_S5_iiT1_T2_lllS6_S7_lllT3_llli,@function
_ZL19rocblas_geam_deviceILi16ELi16E19rocblas_complex_numIdEPKS1_PS1_Ev18rocblas_operation_S5_iiT1_T2_lllS6_S7_lllT3_llli: ; @_ZL19rocblas_geam_deviceILi16ELi16E19rocblas_complex_numIdEPKS1_PS1_Ev18rocblas_operation_S5_iiT1_T2_lllS6_S7_lllT3_llli
; %bb.0:
	s_load_b32 s24, s[0:1], 0x90
	s_bfe_u32 s2, ttmp6, 0x40014
	s_lshr_b32 s3, ttmp7, 16
	s_add_co_i32 s2, s2, 1
	s_bfe_u32 s4, ttmp6, 0x40008
	s_mul_i32 s2, s3, s2
	s_getreg_b32 s25, hwreg(HW_REG_IB_STS2, 6, 4)
	s_add_co_i32 s4, s4, s2
	s_cmp_eq_u32 s25, 0
	s_cselect_b32 s2, s3, s4
	s_mov_b32 s3, 0
	s_wait_kmcnt 0x0
	s_cmp_ge_u32 s2, s24
	s_cbranch_scc1 .LBB34_9
; %bb.1:
	s_clause 0x1
	s_load_b128 s[20:23], s[0:1], 0x0
	s_load_b512 s[36:51], s[0:1], 0x10
	v_and_b32_e32 v2, 0x3ff, v0
	s_wait_kmcnt 0x0
	s_add_co_i32 s4, s22, -1
	s_delay_alu instid0(SALU_CYCLE_1) | instskip(NEXT) | instid1(SALU_CYCLE_1)
	s_ashr_i32 s5, s4, 31
	s_lshr_b32 s5, s5, 28
	s_delay_alu instid0(SALU_CYCLE_1) | instskip(NEXT) | instid1(SALU_CYCLE_1)
	s_add_co_i32 s4, s4, s5
	s_ashr_i32 s26, s4, 4
	s_load_b512 s[4:19], s[0:1], 0x50
	s_add_co_i32 s28, s26, 1
	s_wait_xcnt 0x0
	s_bfe_u32 s1, ttmp6, 0x4000c
	s_cvt_f32_u32 s27, s28
	s_not_b32 s26, s26
	s_add_co_i32 s1, s1, 1
	s_delay_alu instid0(SALU_CYCLE_1) | instskip(SKIP_2) | instid1(SALU_CYCLE_1)
	s_mul_i32 s1, ttmp9, s1
	v_rcp_iflag_f32_e32 v1, s27
	s_and_b32 s27, ttmp6, 15
	s_add_co_i32 s1, s27, s1
	v_nop
	s_delay_alu instid0(TRANS32_DEP_1)
	v_readfirstlane_b32 s0, v1
	v_bfe_u32 v1, v0, 10, 10
	s_mul_f32 s0, s0, 0x4f7ffffe
	s_wait_kmcnt 0x0
	s_lshl_b64 s[6:7], s[6:7], 4
	s_lshl_b64 s[14:15], s[14:15], 4
	s_cvt_u32_f32 s0, s0
	s_add_nc_u64 s[12:13], s[12:13], s[14:15]
	s_delay_alu instid0(SALU_CYCLE_2) | instskip(SKIP_2) | instid1(SALU_CYCLE_1)
	s_mul_i32 s29, s26, s0
	s_lshl_b64 s[26:27], s[42:43], 4
	s_mul_hi_u32 s29, s0, s29
	s_add_co_i32 s0, s0, s29
	s_cmp_eq_u32 s25, 0
	s_cselect_b32 s1, ttmp9, s1
	s_delay_alu instid0(SALU_CYCLE_1) | instskip(NEXT) | instid1(SALU_CYCLE_1)
	s_mul_hi_u32 s0, s1, s0
	s_mul_i32 s25, s0, s28
	s_add_co_i32 s29, s0, 1
	s_sub_co_i32 s25, s1, s25
	s_delay_alu instid0(SALU_CYCLE_1)
	s_sub_co_i32 s30, s25, s28
	s_cmp_ge_u32 s25, s28
	s_cselect_b32 s0, s29, s0
	s_cselect_b32 s25, s30, s25
	s_add_co_i32 s29, s0, 1
	s_cmp_ge_u32 s25, s28
	s_cselect_b32 s0, s29, s0
	v_cmp_neq_f64_e64 s29, s[50:51], 0
	s_mul_i32 s25, s0, s28
	v_lshl_add_u32 v0, s0, 4, v1
	s_sub_co_i32 s0, s1, s25
	v_cmp_neq_f64_e64 s1, s[36:37], 0
	v_lshl_add_u32 v2, s0, 4, v2
	v_cmp_neq_f64_e64 s25, s[38:39], 0
	v_ashrrev_i32_e32 v1, 31, v0
	v_cmp_neq_f64_e64 s28, s[48:49], 0
	v_cmp_gt_i32_e32 vcc_lo, s23, v0
	v_ashrrev_i32_e32 v3, 31, v2
	v_cmp_gt_i32_e64 s0, s22, v2
	v_mad_nc_u64_u32 v[6:7], s44, v2, v[0:1]
	v_mad_nc_u64_u32 v[8:9], s8, v2, v[0:1]
	v_mul_u64_e32 v[4:5], s[16:17], v[0:1]
	v_mad_nc_u64_u32 v[10:11], s8, v0, v[2:3]
	v_mad_nc_u64_u32 v[12:13], s44, v0, v[2:3]
	s_add_nc_u64 s[16:17], s[4:5], s[6:7]
	s_and_b32 s4, s0, vcc_lo
	s_cmp_eq_u32 s20, 0x6f
	s_cselect_b32 vcc_lo, -1, 0
	s_cmp_eq_u32 s21, 0x6f
	v_mad_u32 v7, s45, v2, v7
	v_mad_u32 v9, s9, v2, v9
	s_cselect_b32 s0, -1, 0
	s_delay_alu instid0(VALU_DEP_4) | instskip(NEXT) | instid1(VALU_DEP_4)
	v_mad_u32 v11, s9, v0, v11
	v_mad_u32 v0, s45, v0, v13
	v_cndmask_b32_e32 v6, v6, v12, vcc_lo
	v_mad_u32 v7, s44, v3, v7
	v_mad_u32 v9, s8, v3, v9
	;; [unrolled: 1-line block ×4, first 2 shown]
	s_add_nc_u64 s[8:9], s[40:41], s[26:27]
	s_or_b32 s5, s1, s25
	s_or_b32 s6, s28, s29
	s_cmp_eq_u32 s20, 0x71
	v_lshl_add_u64 v[0:1], v[4:5], 4, s[12:13]
	s_delay_alu instid0(VALU_DEP_3) | instskip(NEXT) | instid1(VALU_DEP_3)
	v_dual_cndmask_b32 v4, v8, v10, s0 :: v_dual_cndmask_b32 v5, v9, v11, s0
	v_cndmask_b32_e32 v7, v7, v13, vcc_lo
	s_cselect_b32 s0, -1, 0
	s_delay_alu instid0(VALU_DEP_3)
	v_lshl_add_u64 v[8:9], v[2:3], 4, v[0:1]
	s_cmp_eq_u32 s21, 0x71
	v_lshl_add_u64 v[12:13], v[4:5], 4, s[16:17]
	v_lshl_add_u64 v[10:11], v[6:7], 4, s[8:9]
	s_cselect_b32 s1, -1, 0
	s_branch .LBB34_4
.LBB34_2:                               ;   in Loop: Header=BB34_4 Depth=1
	s_wait_loadcnt 0x0
	s_delay_alu instid0(VALU_DEP_1) | instskip(SKIP_2) | instid1(VALU_DEP_2)
	v_xor_b32_e32 v14, 0x80000000, v7
	v_xor_b32_e32 v15, 0x80000000, v3
	s_mul_u64 s[8:9], s[18:19], s[2:3]
	v_cndmask_b32_e64 v7, v7, v14, s1
	s_delay_alu instid0(VALU_DEP_2) | instskip(NEXT) | instid1(VALU_DEP_2)
	v_cndmask_b32_e64 v3, v3, v15, s0
	v_mul_f64_e32 v[14:15], s[50:51], v[6:7]
	s_delay_alu instid0(VALU_DEP_2) | instskip(NEXT) | instid1(VALU_DEP_2)
	v_mul_f64_e32 v[16:17], s[38:39], v[2:3]
	v_fma_f64 v[14:15], s[48:49], v[4:5], -v[14:15]
	v_mul_f64_e32 v[6:7], s[48:49], v[6:7]
	s_delay_alu instid0(VALU_DEP_1) | instskip(SKIP_1) | instid1(VALU_DEP_4)
	v_fmac_f64_e32 v[6:7], s[50:51], v[4:5]
	s_wait_xcnt 0x0
	v_fma_f64 v[4:5], s[36:37], v[0:1], -v[16:17]
	v_mul_f64_e32 v[2:3], s[36:37], v[2:3]
	s_delay_alu instid0(VALU_DEP_1) | instskip(NEXT) | instid1(VALU_DEP_3)
	v_fmac_f64_e32 v[2:3], s[38:39], v[0:1]
	v_add_f64_e32 v[0:1], v[4:5], v[14:15]
	v_lshl_add_u64 v[4:5], s[8:9], 4, v[8:9]
	s_delay_alu instid0(VALU_DEP_3)
	v_add_f64_e32 v[2:3], v[2:3], v[6:7]
	global_store_b128 v[4:5], v[0:3], off
.LBB34_3:                               ;   in Loop: Header=BB34_4 Depth=1
	s_wait_xcnt 0x0
	s_or_b32 exec_lo, exec_lo, s7
	s_add_co_i32 s2, s2, 0x10000
	s_delay_alu instid0(SALU_CYCLE_1)
	s_cmp_lt_u32 s2, s24
	s_cbranch_scc0 .LBB34_9
.LBB34_4:                               ; =>This Inner Loop Header: Depth=1
	s_and_saveexec_b32 s7, s4
	s_cbranch_execz .LBB34_3
; %bb.5:                                ;   in Loop: Header=BB34_4 Depth=1
	v_mov_b64_e32 v[4:5], 0
	v_mov_b64_e32 v[0:1], 0
	;; [unrolled: 1-line block ×3, first 2 shown]
	s_and_not1_b32 vcc_lo, exec_lo, s5
	s_cbranch_vccnz .LBB34_7
; %bb.6:                                ;   in Loop: Header=BB34_4 Depth=1
	s_mul_u64 s[8:9], s[46:47], s[2:3]
	s_delay_alu instid0(SALU_CYCLE_1)
	v_lshl_add_u64 v[0:1], s[8:9], 4, v[10:11]
	global_load_b128 v[0:3], v[0:1], off
.LBB34_7:                               ;   in Loop: Header=BB34_4 Depth=1
	v_mov_b64_e32 v[6:7], 0
	s_and_not1_b32 vcc_lo, exec_lo, s6
	s_cbranch_vccnz .LBB34_2
; %bb.8:                                ;   in Loop: Header=BB34_4 Depth=1
	s_mul_u64 s[8:9], s[10:11], s[2:3]
	s_delay_alu instid0(SALU_CYCLE_1)
	v_lshl_add_u64 v[4:5], s[8:9], 4, v[12:13]
	global_load_b128 v[4:7], v[4:5], off
	s_branch .LBB34_2
.LBB34_9:
	s_endpgm
	.section	.rodata,"a",@progbits
	.p2align	6, 0x0
	.amdhsa_kernel _ZL19rocblas_geam_deviceILi16ELi16E19rocblas_complex_numIdEPKS1_PS1_Ev18rocblas_operation_S5_iiT1_T2_lllS6_S7_lllT3_llli
		.amdhsa_group_segment_fixed_size 0
		.amdhsa_private_segment_fixed_size 0
		.amdhsa_kernarg_size 148
		.amdhsa_user_sgpr_count 2
		.amdhsa_user_sgpr_dispatch_ptr 0
		.amdhsa_user_sgpr_queue_ptr 0
		.amdhsa_user_sgpr_kernarg_segment_ptr 1
		.amdhsa_user_sgpr_dispatch_id 0
		.amdhsa_user_sgpr_kernarg_preload_length 0
		.amdhsa_user_sgpr_kernarg_preload_offset 0
		.amdhsa_user_sgpr_private_segment_size 0
		.amdhsa_wavefront_size32 1
		.amdhsa_uses_dynamic_stack 0
		.amdhsa_enable_private_segment 0
		.amdhsa_system_sgpr_workgroup_id_x 1
		.amdhsa_system_sgpr_workgroup_id_y 0
		.amdhsa_system_sgpr_workgroup_id_z 1
		.amdhsa_system_sgpr_workgroup_info 0
		.amdhsa_system_vgpr_workitem_id 1
		.amdhsa_next_free_vgpr 18
		.amdhsa_next_free_sgpr 52
		.amdhsa_named_barrier_count 0
		.amdhsa_reserve_vcc 1
		.amdhsa_float_round_mode_32 0
		.amdhsa_float_round_mode_16_64 0
		.amdhsa_float_denorm_mode_32 3
		.amdhsa_float_denorm_mode_16_64 3
		.amdhsa_fp16_overflow 0
		.amdhsa_memory_ordered 1
		.amdhsa_forward_progress 1
		.amdhsa_inst_pref_size 7
		.amdhsa_round_robin_scheduling 0
		.amdhsa_exception_fp_ieee_invalid_op 0
		.amdhsa_exception_fp_denorm_src 0
		.amdhsa_exception_fp_ieee_div_zero 0
		.amdhsa_exception_fp_ieee_overflow 0
		.amdhsa_exception_fp_ieee_underflow 0
		.amdhsa_exception_fp_ieee_inexact 0
		.amdhsa_exception_int_div_zero 0
	.end_amdhsa_kernel
	.section	.text._ZL19rocblas_geam_deviceILi16ELi16E19rocblas_complex_numIdEPKS1_PS1_Ev18rocblas_operation_S5_iiT1_T2_lllS6_S7_lllT3_llli,"axG",@progbits,_ZL19rocblas_geam_deviceILi16ELi16E19rocblas_complex_numIdEPKS1_PS1_Ev18rocblas_operation_S5_iiT1_T2_lllS6_S7_lllT3_llli,comdat
.Lfunc_end34:
	.size	_ZL19rocblas_geam_deviceILi16ELi16E19rocblas_complex_numIdEPKS1_PS1_Ev18rocblas_operation_S5_iiT1_T2_lllS6_S7_lllT3_llli, .Lfunc_end34-_ZL19rocblas_geam_deviceILi16ELi16E19rocblas_complex_numIdEPKS1_PS1_Ev18rocblas_operation_S5_iiT1_T2_lllS6_S7_lllT3_llli
                                        ; -- End function
	.set _ZL19rocblas_geam_deviceILi16ELi16E19rocblas_complex_numIdEPKS1_PS1_Ev18rocblas_operation_S5_iiT1_T2_lllS6_S7_lllT3_llli.num_vgpr, 18
	.set _ZL19rocblas_geam_deviceILi16ELi16E19rocblas_complex_numIdEPKS1_PS1_Ev18rocblas_operation_S5_iiT1_T2_lllS6_S7_lllT3_llli.num_agpr, 0
	.set _ZL19rocblas_geam_deviceILi16ELi16E19rocblas_complex_numIdEPKS1_PS1_Ev18rocblas_operation_S5_iiT1_T2_lllS6_S7_lllT3_llli.numbered_sgpr, 52
	.set _ZL19rocblas_geam_deviceILi16ELi16E19rocblas_complex_numIdEPKS1_PS1_Ev18rocblas_operation_S5_iiT1_T2_lllS6_S7_lllT3_llli.num_named_barrier, 0
	.set _ZL19rocblas_geam_deviceILi16ELi16E19rocblas_complex_numIdEPKS1_PS1_Ev18rocblas_operation_S5_iiT1_T2_lllS6_S7_lllT3_llli.private_seg_size, 0
	.set _ZL19rocblas_geam_deviceILi16ELi16E19rocblas_complex_numIdEPKS1_PS1_Ev18rocblas_operation_S5_iiT1_T2_lllS6_S7_lllT3_llli.uses_vcc, 1
	.set _ZL19rocblas_geam_deviceILi16ELi16E19rocblas_complex_numIdEPKS1_PS1_Ev18rocblas_operation_S5_iiT1_T2_lllS6_S7_lllT3_llli.uses_flat_scratch, 0
	.set _ZL19rocblas_geam_deviceILi16ELi16E19rocblas_complex_numIdEPKS1_PS1_Ev18rocblas_operation_S5_iiT1_T2_lllS6_S7_lllT3_llli.has_dyn_sized_stack, 0
	.set _ZL19rocblas_geam_deviceILi16ELi16E19rocblas_complex_numIdEPKS1_PS1_Ev18rocblas_operation_S5_iiT1_T2_lllS6_S7_lllT3_llli.has_recursion, 0
	.set _ZL19rocblas_geam_deviceILi16ELi16E19rocblas_complex_numIdEPKS1_PS1_Ev18rocblas_operation_S5_iiT1_T2_lllS6_S7_lllT3_llli.has_indirect_call, 0
	.section	.AMDGPU.csdata,"",@progbits
; Kernel info:
; codeLenInByte = 892
; TotalNumSgprs: 54
; NumVgprs: 18
; ScratchSize: 0
; MemoryBound: 1
; FloatMode: 240
; IeeeMode: 1
; LDSByteSize: 0 bytes/workgroup (compile time only)
; SGPRBlocks: 0
; VGPRBlocks: 1
; NumSGPRsForWavesPerEU: 54
; NumVGPRsForWavesPerEU: 18
; NamedBarCnt: 0
; Occupancy: 16
; WaveLimiterHint : 0
; COMPUTE_PGM_RSRC2:SCRATCH_EN: 0
; COMPUTE_PGM_RSRC2:USER_SGPR: 2
; COMPUTE_PGM_RSRC2:TRAP_HANDLER: 0
; COMPUTE_PGM_RSRC2:TGID_X_EN: 1
; COMPUTE_PGM_RSRC2:TGID_Y_EN: 0
; COMPUTE_PGM_RSRC2:TGID_Z_EN: 1
; COMPUTE_PGM_RSRC2:TIDIG_COMP_CNT: 1
	.section	.text._ZL19rocblas_geam_deviceILi16ELi16EPK19rocblas_complex_numIdES3_PS1_Ev18rocblas_operation_S5_iiT1_T2_lllS6_S7_lllT3_llli,"axG",@progbits,_ZL19rocblas_geam_deviceILi16ELi16EPK19rocblas_complex_numIdES3_PS1_Ev18rocblas_operation_S5_iiT1_T2_lllS6_S7_lllT3_llli,comdat
	.globl	_ZL19rocblas_geam_deviceILi16ELi16EPK19rocblas_complex_numIdES3_PS1_Ev18rocblas_operation_S5_iiT1_T2_lllS6_S7_lllT3_llli ; -- Begin function _ZL19rocblas_geam_deviceILi16ELi16EPK19rocblas_complex_numIdES3_PS1_Ev18rocblas_operation_S5_iiT1_T2_lllS6_S7_lllT3_llli
	.p2align	8
	.type	_ZL19rocblas_geam_deviceILi16ELi16EPK19rocblas_complex_numIdES3_PS1_Ev18rocblas_operation_S5_iiT1_T2_lllS6_S7_lllT3_llli,@function
_ZL19rocblas_geam_deviceILi16ELi16EPK19rocblas_complex_numIdES3_PS1_Ev18rocblas_operation_S5_iiT1_T2_lllS6_S7_lllT3_llli: ; @_ZL19rocblas_geam_deviceILi16ELi16EPK19rocblas_complex_numIdES3_PS1_Ev18rocblas_operation_S5_iiT1_T2_lllS6_S7_lllT3_llli
; %bb.0:
	s_load_b32 s3, s[0:1], 0x80
	s_bfe_u32 s2, ttmp6, 0x40014
	s_lshr_b32 s4, ttmp7, 16
	s_add_co_i32 s2, s2, 1
	s_bfe_u32 s6, ttmp6, 0x40008
	s_mul_i32 s5, s4, s2
	s_getreg_b32 s2, hwreg(HW_REG_IB_STS2, 6, 4)
	s_add_co_i32 s6, s6, s5
	s_cmp_eq_u32 s2, 0
	s_mov_b32 s35, 0
	s_cselect_b32 s34, s4, s6
	s_wait_kmcnt 0x0
	s_cmp_ge_u32 s34, s3
	s_cbranch_scc1 .LBB35_9
; %bb.1:
	s_load_b128 s[36:39], s[0:1], 0x0
	s_bfe_u32 s30, ttmp6, 0x4000c
	s_and_b32 s31, ttmp6, 15
	s_add_co_i32 s30, s30, 1
	v_and_b32_e32 v2, 0x3ff, v0
	s_mul_i32 s30, ttmp9, s30
	v_mov_b32_e32 v22, 0
	s_add_co_i32 s31, s31, s30
	s_wait_kmcnt 0x0
	s_add_co_i32 s4, s38, -1
	s_delay_alu instid0(SALU_CYCLE_1) | instskip(NEXT) | instid1(SALU_CYCLE_1)
	s_ashr_i32 s5, s4, 31
	s_lshr_b32 s5, s5, 28
	s_delay_alu instid0(SALU_CYCLE_1) | instskip(NEXT) | instid1(SALU_CYCLE_1)
	s_add_co_i32 s4, s4, s5
	s_ashr_i32 s28, s4, 4
	s_load_b512 s[4:19], s[0:1], 0x10
	s_add_co_i32 s33, s28, 1
	s_not_b32 s28, s28
	s_cvt_f32_u32 s20, s33
	s_delay_alu instid0(SALU_CYCLE_3) | instskip(SKIP_2) | instid1(TRANS32_DEP_1)
	v_rcp_iflag_f32_e32 v1, s20
	s_load_b256 s[20:27], s[0:1], 0x50
	v_nop
	v_readfirstlane_b32 s29, v1
	v_bfe_u32 v1, v0, 10, 10
	s_mul_f32 s29, s29, 0x4f7ffffe
	s_wait_kmcnt 0x0
	s_lshl_b64 s[40:41], s[8:9], 4
	s_lshl_b64 s[18:19], s[18:19], 4
	s_add_nc_u64 s[6:7], s[6:7], s[40:41]
	s_cvt_u32_f32 s29, s29
	s_delay_alu instid0(SALU_CYCLE_3) | instskip(SKIP_2) | instid1(SALU_CYCLE_1)
	s_mul_i32 s28, s28, s29
	s_lshl_b64 s[26:27], s[26:27], 4
	s_mul_hi_u32 s8, s29, s28
	s_add_co_i32 s29, s29, s8
	s_cmp_eq_u32 s2, 0
	s_cselect_b32 s2, ttmp9, s31
	s_delay_alu instid0(SALU_CYCLE_1)
	s_mul_hi_u32 s8, s2, s29
	s_load_b128 s[28:31], s[0:1], 0x70
	s_mul_i32 s9, s8, s33
	s_wait_xcnt 0x0
	s_add_co_i32 s1, s8, 1
	s_sub_co_i32 s0, s2, s9
	s_delay_alu instid0(SALU_CYCLE_1)
	s_sub_co_i32 s9, s0, s33
	s_cmp_ge_u32 s0, s33
	s_cselect_b32 s1, s1, s8
	s_cselect_b32 s0, s9, s0
	s_add_co_i32 s8, s1, 1
	s_cmp_ge_u32 s0, s33
	s_cselect_b32 s0, s8, s1
	s_delay_alu instid0(SALU_CYCLE_1) | instskip(SKIP_2) | instid1(SALU_CYCLE_1)
	s_mul_i32 s1, s0, s33
	v_lshl_add_u32 v0, s0, 4, v1
	s_sub_co_i32 s0, s2, s1
	v_lshl_add_u32 v2, s0, 4, v2
	s_delay_alu instid0(VALU_DEP_2) | instskip(SKIP_1) | instid1(VALU_DEP_3)
	v_ashrrev_i32_e32 v1, 31, v0
	v_cmp_gt_i32_e32 vcc_lo, s39, v0
	v_ashrrev_i32_e32 v3, 31, v2
	v_cmp_gt_i32_e64 s0, s38, v2
	s_delay_alu instid0(VALU_DEP_4)
	v_mad_nc_u64_u32 v[6:7], s10, v2, v[0:1]
	v_mad_nc_u64_u32 v[8:9], s20, v2, v[0:1]
	s_wait_kmcnt 0x0
	v_mul_u64_e32 v[4:5], s[28:29], v[0:1]
	v_mad_nc_u64_u32 v[10:11], s20, v0, v[2:3]
	v_mad_nc_u64_u32 v[12:13], s10, v0, v[2:3]
	s_and_b32 s8, s0, vcc_lo
	s_cmp_eq_u32 s36, 0x6f
	s_cselect_b32 vcc_lo, -1, 0
	s_cmp_eq_u32 s37, 0x6f
	v_mad_u32 v7, s11, v2, v7
	v_mad_u32 v9, s21, v2, v9
	s_cselect_b32 s0, -1, 0
	s_delay_alu instid0(VALU_DEP_4) | instskip(NEXT) | instid1(VALU_DEP_4)
	v_mad_u32 v11, s21, v0, v11
	v_mad_u32 v13, s11, v0, v13
	v_cndmask_b32_e32 v6, v6, v12, vcc_lo
	s_cmp_eq_u32 s36, 0x71
	v_mad_u32 v7, s10, v3, v7
	v_mad_u32 v9, s20, v3, v9
	;; [unrolled: 1-line block ×4, first 2 shown]
	s_add_nc_u64 s[10:11], s[16:17], s[18:19]
	s_add_nc_u64 s[16:17], s[24:25], s[26:27]
	s_delay_alu instid0(SALU_CYCLE_1) | instskip(NEXT) | instid1(VALU_DEP_3)
	v_lshl_add_u64 v[0:1], v[4:5], 4, s[16:17]
	v_dual_cndmask_b32 v4, v8, v10, s0 :: v_dual_cndmask_b32 v5, v9, v11, s0
	s_delay_alu instid0(VALU_DEP_3) | instskip(SKIP_1) | instid1(VALU_DEP_3)
	v_cndmask_b32_e32 v7, v7, v13, vcc_lo
	s_cselect_b32 s0, -1, 0
	v_lshl_add_u64 v[16:17], v[2:3], 4, v[0:1]
	s_cmp_eq_u32 s37, 0x71
	v_lshl_add_u64 v[20:21], v[4:5], 4, s[10:11]
	v_lshl_add_u64 v[18:19], v[6:7], 4, s[6:7]
	s_cselect_b32 s1, -1, 0
	s_branch .LBB35_4
.LBB35_2:                               ;   in Loop: Header=BB35_4 Depth=1
	s_wait_loadcnt 0x0
	s_delay_alu instid0(VALU_DEP_1) | instskip(SKIP_2) | instid1(VALU_DEP_2)
	v_xor_b32_e32 v23, 0x80000000, v15
	v_xor_b32_e32 v24, 0x80000000, v11
	s_mul_u64 s[10:11], s[30:31], s[34:35]
	v_cndmask_b32_e64 v15, v15, v23, s1
	s_delay_alu instid0(VALU_DEP_2) | instskip(NEXT) | instid1(VALU_DEP_2)
	v_cndmask_b32_e64 v11, v11, v24, s0
	v_mul_f64_e32 v[24:25], v[6:7], v[14:15]
	v_mul_f64_e32 v[14:15], v[4:5], v[14:15]
	s_delay_alu instid0(VALU_DEP_3) | instskip(SKIP_1) | instid1(VALU_DEP_4)
	v_mul_f64_e32 v[26:27], v[2:3], v[10:11]
	v_mul_f64_e32 v[10:11], v[0:1], v[10:11]
	v_fma_f64 v[4:5], v[4:5], v[12:13], -v[24:25]
	s_delay_alu instid0(VALU_DEP_4) | instskip(NEXT) | instid1(VALU_DEP_4)
	v_fmac_f64_e32 v[14:15], v[6:7], v[12:13]
	v_fma_f64 v[0:1], v[0:1], v[8:9], -v[26:27]
	s_delay_alu instid0(VALU_DEP_4) | instskip(NEXT) | instid1(VALU_DEP_2)
	v_fmac_f64_e32 v[10:11], v[2:3], v[8:9]
	v_add_f64_e32 v[0:1], v[0:1], v[4:5]
	s_delay_alu instid0(VALU_DEP_2)
	v_add_f64_e32 v[2:3], v[10:11], v[14:15]
	v_lshl_add_u64 v[4:5], s[10:11], 4, v[16:17]
	global_store_b128 v[4:5], v[0:3], off
.LBB35_3:                               ;   in Loop: Header=BB35_4 Depth=1
	s_wait_xcnt 0x0
	s_or_b32 exec_lo, exec_lo, s6
	s_add_co_i32 s34, s34, 0x10000
	s_delay_alu instid0(SALU_CYCLE_1)
	s_cmp_lt_u32 s34, s3
	s_cbranch_scc0 .LBB35_9
.LBB35_4:                               ; =>This Inner Loop Header: Depth=1
	s_and_saveexec_b32 s6, s8
	s_cbranch_execz .LBB35_3
; %bb.5:                                ;   in Loop: Header=BB35_4 Depth=1
	s_clause 0x1
	global_load_b128 v[0:3], v22, s[4:5]
	global_load_b128 v[4:7], v22, s[14:15]
	v_mov_b64_e32 v[12:13], 0
	v_mov_b64_e32 v[8:9], 0
	;; [unrolled: 1-line block ×3, first 2 shown]
	s_wait_loadcnt 0x1
	v_cmp_neq_f64_e32 vcc_lo, 0, v[0:1]
	v_cmp_neq_f64_e64 s2, 0, v[2:3]
	s_or_b32 s2, vcc_lo, s2
	s_delay_alu instid0(SALU_CYCLE_1)
	s_and_not1_b32 vcc_lo, exec_lo, s2
	s_cbranch_vccnz .LBB35_7
; %bb.6:                                ;   in Loop: Header=BB35_4 Depth=1
	s_mul_u64 s[10:11], s[12:13], s[34:35]
	s_delay_alu instid0(SALU_CYCLE_1)
	v_lshl_add_u64 v[8:9], s[10:11], 4, v[18:19]
	global_load_b128 v[8:11], v[8:9], off
.LBB35_7:                               ;   in Loop: Header=BB35_4 Depth=1
	s_wait_loadcnt 0x0
	v_cmp_neq_f64_e32 vcc_lo, 0, v[4:5]
	v_cmp_neq_f64_e64 s2, 0, v[6:7]
	v_mov_b64_e32 v[14:15], 0
	s_or_b32 s2, vcc_lo, s2
	s_delay_alu instid0(SALU_CYCLE_1)
	s_and_not1_b32 vcc_lo, exec_lo, s2
	s_cbranch_vccnz .LBB35_2
; %bb.8:                                ;   in Loop: Header=BB35_4 Depth=1
	s_mul_u64 s[10:11], s[22:23], s[34:35]
	s_delay_alu instid0(SALU_CYCLE_1)
	v_lshl_add_u64 v[12:13], s[10:11], 4, v[20:21]
	global_load_b128 v[12:15], v[12:13], off
	s_branch .LBB35_2
.LBB35_9:
	s_endpgm
	.section	.rodata,"a",@progbits
	.p2align	6, 0x0
	.amdhsa_kernel _ZL19rocblas_geam_deviceILi16ELi16EPK19rocblas_complex_numIdES3_PS1_Ev18rocblas_operation_S5_iiT1_T2_lllS6_S7_lllT3_llli
		.amdhsa_group_segment_fixed_size 0
		.amdhsa_private_segment_fixed_size 0
		.amdhsa_kernarg_size 132
		.amdhsa_user_sgpr_count 2
		.amdhsa_user_sgpr_dispatch_ptr 0
		.amdhsa_user_sgpr_queue_ptr 0
		.amdhsa_user_sgpr_kernarg_segment_ptr 1
		.amdhsa_user_sgpr_dispatch_id 0
		.amdhsa_user_sgpr_kernarg_preload_length 0
		.amdhsa_user_sgpr_kernarg_preload_offset 0
		.amdhsa_user_sgpr_private_segment_size 0
		.amdhsa_wavefront_size32 1
		.amdhsa_uses_dynamic_stack 0
		.amdhsa_enable_private_segment 0
		.amdhsa_system_sgpr_workgroup_id_x 1
		.amdhsa_system_sgpr_workgroup_id_y 0
		.amdhsa_system_sgpr_workgroup_id_z 1
		.amdhsa_system_sgpr_workgroup_info 0
		.amdhsa_system_vgpr_workitem_id 1
		.amdhsa_next_free_vgpr 28
		.amdhsa_next_free_sgpr 42
		.amdhsa_named_barrier_count 0
		.amdhsa_reserve_vcc 1
		.amdhsa_float_round_mode_32 0
		.amdhsa_float_round_mode_16_64 0
		.amdhsa_float_denorm_mode_32 3
		.amdhsa_float_denorm_mode_16_64 3
		.amdhsa_fp16_overflow 0
		.amdhsa_memory_ordered 1
		.amdhsa_forward_progress 1
		.amdhsa_inst_pref_size 8
		.amdhsa_round_robin_scheduling 0
		.amdhsa_exception_fp_ieee_invalid_op 0
		.amdhsa_exception_fp_denorm_src 0
		.amdhsa_exception_fp_ieee_div_zero 0
		.amdhsa_exception_fp_ieee_overflow 0
		.amdhsa_exception_fp_ieee_underflow 0
		.amdhsa_exception_fp_ieee_inexact 0
		.amdhsa_exception_int_div_zero 0
	.end_amdhsa_kernel
	.section	.text._ZL19rocblas_geam_deviceILi16ELi16EPK19rocblas_complex_numIdES3_PS1_Ev18rocblas_operation_S5_iiT1_T2_lllS6_S7_lllT3_llli,"axG",@progbits,_ZL19rocblas_geam_deviceILi16ELi16EPK19rocblas_complex_numIdES3_PS1_Ev18rocblas_operation_S5_iiT1_T2_lllS6_S7_lllT3_llli,comdat
.Lfunc_end35:
	.size	_ZL19rocblas_geam_deviceILi16ELi16EPK19rocblas_complex_numIdES3_PS1_Ev18rocblas_operation_S5_iiT1_T2_lllS6_S7_lllT3_llli, .Lfunc_end35-_ZL19rocblas_geam_deviceILi16ELi16EPK19rocblas_complex_numIdES3_PS1_Ev18rocblas_operation_S5_iiT1_T2_lllS6_S7_lllT3_llli
                                        ; -- End function
	.set _ZL19rocblas_geam_deviceILi16ELi16EPK19rocblas_complex_numIdES3_PS1_Ev18rocblas_operation_S5_iiT1_T2_lllS6_S7_lllT3_llli.num_vgpr, 28
	.set _ZL19rocblas_geam_deviceILi16ELi16EPK19rocblas_complex_numIdES3_PS1_Ev18rocblas_operation_S5_iiT1_T2_lllS6_S7_lllT3_llli.num_agpr, 0
	.set _ZL19rocblas_geam_deviceILi16ELi16EPK19rocblas_complex_numIdES3_PS1_Ev18rocblas_operation_S5_iiT1_T2_lllS6_S7_lllT3_llli.numbered_sgpr, 42
	.set _ZL19rocblas_geam_deviceILi16ELi16EPK19rocblas_complex_numIdES3_PS1_Ev18rocblas_operation_S5_iiT1_T2_lllS6_S7_lllT3_llli.num_named_barrier, 0
	.set _ZL19rocblas_geam_deviceILi16ELi16EPK19rocblas_complex_numIdES3_PS1_Ev18rocblas_operation_S5_iiT1_T2_lllS6_S7_lllT3_llli.private_seg_size, 0
	.set _ZL19rocblas_geam_deviceILi16ELi16EPK19rocblas_complex_numIdES3_PS1_Ev18rocblas_operation_S5_iiT1_T2_lllS6_S7_lllT3_llli.uses_vcc, 1
	.set _ZL19rocblas_geam_deviceILi16ELi16EPK19rocblas_complex_numIdES3_PS1_Ev18rocblas_operation_S5_iiT1_T2_lllS6_S7_lllT3_llli.uses_flat_scratch, 0
	.set _ZL19rocblas_geam_deviceILi16ELi16EPK19rocblas_complex_numIdES3_PS1_Ev18rocblas_operation_S5_iiT1_T2_lllS6_S7_lllT3_llli.has_dyn_sized_stack, 0
	.set _ZL19rocblas_geam_deviceILi16ELi16EPK19rocblas_complex_numIdES3_PS1_Ev18rocblas_operation_S5_iiT1_T2_lllS6_S7_lllT3_llli.has_recursion, 0
	.set _ZL19rocblas_geam_deviceILi16ELi16EPK19rocblas_complex_numIdES3_PS1_Ev18rocblas_operation_S5_iiT1_T2_lllS6_S7_lllT3_llli.has_indirect_call, 0
	.section	.AMDGPU.csdata,"",@progbits
; Kernel info:
; codeLenInByte = 944
; TotalNumSgprs: 44
; NumVgprs: 28
; ScratchSize: 0
; MemoryBound: 1
; FloatMode: 240
; IeeeMode: 1
; LDSByteSize: 0 bytes/workgroup (compile time only)
; SGPRBlocks: 0
; VGPRBlocks: 1
; NumSGPRsForWavesPerEU: 44
; NumVGPRsForWavesPerEU: 28
; NamedBarCnt: 0
; Occupancy: 16
; WaveLimiterHint : 0
; COMPUTE_PGM_RSRC2:SCRATCH_EN: 0
; COMPUTE_PGM_RSRC2:USER_SGPR: 2
; COMPUTE_PGM_RSRC2:TRAP_HANDLER: 0
; COMPUTE_PGM_RSRC2:TGID_X_EN: 1
; COMPUTE_PGM_RSRC2:TGID_Y_EN: 0
; COMPUTE_PGM_RSRC2:TGID_Z_EN: 1
; COMPUTE_PGM_RSRC2:TIDIG_COMP_CNT: 1
	.section	.text._ZL31rocblas_geam_zero_matrix_deviceILi16ELi16EPKPfEviiT1_llli,"axG",@progbits,_ZL31rocblas_geam_zero_matrix_deviceILi16ELi16EPKPfEviiT1_llli,comdat
	.globl	_ZL31rocblas_geam_zero_matrix_deviceILi16ELi16EPKPfEviiT1_llli ; -- Begin function _ZL31rocblas_geam_zero_matrix_deviceILi16ELi16EPKPfEviiT1_llli
	.p2align	8
	.type	_ZL31rocblas_geam_zero_matrix_deviceILi16ELi16EPKPfEviiT1_llli,@function
_ZL31rocblas_geam_zero_matrix_deviceILi16ELi16EPKPfEviiT1_llli: ; @_ZL31rocblas_geam_zero_matrix_deviceILi16ELi16EPKPfEviiT1_llli
; %bb.0:
	s_load_b32 s2, s[0:1], 0x28
	s_bfe_u32 s3, ttmp6, 0x40014
	s_lshr_b32 s4, ttmp7, 16
	s_add_co_i32 s3, s3, 1
	s_bfe_u32 s5, ttmp6, 0x40008
	s_mul_i32 s3, s4, s3
	s_getreg_b32 s8, hwreg(HW_REG_IB_STS2, 6, 4)
	s_add_co_i32 s5, s5, s3
	s_cmp_eq_u32 s8, 0
	s_cselect_b32 s3, s4, s5
	s_wait_kmcnt 0x0
	s_cmp_ge_u32 s3, s2
	s_cbranch_scc1 .LBB36_5
; %bb.1:
	s_clause 0x1
	s_load_b64 s[10:11], s[0:1], 0x0
	s_load_b128 s[4:7], s[0:1], 0x8
	s_bfe_u32 s15, ttmp6, 0x4000c
	s_and_b32 s14, ttmp6, 15
	s_add_co_i32 s15, s15, 1
	s_wait_xcnt 0x0
	s_load_b64 s[0:1], s[0:1], 0x18
	s_mul_i32 s15, ttmp9, s15
	s_delay_alu instid0(SALU_CYCLE_1) | instskip(SKIP_2) | instid1(SALU_CYCLE_1)
	s_add_co_i32 s14, s14, s15
	s_wait_kmcnt 0x0
	s_add_co_i32 s9, s10, -1
	s_ashr_i32 s12, s9, 31
	s_delay_alu instid0(SALU_CYCLE_1) | instskip(NEXT) | instid1(SALU_CYCLE_1)
	s_lshr_b32 s12, s12, 28
	s_add_co_i32 s9, s9, s12
	s_delay_alu instid0(SALU_CYCLE_1) | instskip(NEXT) | instid1(SALU_CYCLE_1)
	s_ashr_i32 s9, s9, 4
	s_add_co_i32 s12, s9, 1
	s_not_b32 s9, s9
	s_cvt_f32_u32 s13, s12
	s_delay_alu instid0(SALU_CYCLE_3) | instskip(SKIP_1) | instid1(TRANS32_DEP_1)
	v_rcp_iflag_f32_e32 v1, s13
	v_nop
	v_readfirstlane_b32 s13, v1
	v_bfe_u32 v1, v0, 10, 10
	v_and_b32_e32 v0, 0x3ff, v0
	s_mul_f32 s13, s13, 0x4f7ffffe
	s_delay_alu instid0(SALU_CYCLE_3) | instskip(NEXT) | instid1(SALU_CYCLE_3)
	s_cvt_u32_f32 s13, s13
	s_mul_i32 s9, s9, s13
	s_delay_alu instid0(SALU_CYCLE_1) | instskip(NEXT) | instid1(SALU_CYCLE_1)
	s_mul_hi_u32 s9, s13, s9
	s_add_co_i32 s13, s13, s9
	s_cmp_eq_u32 s8, 0
	s_cselect_b32 s8, ttmp9, s14
	s_delay_alu instid0(SALU_CYCLE_1) | instskip(NEXT) | instid1(SALU_CYCLE_1)
	s_mul_hi_u32 s9, s8, s13
	s_mul_i32 s13, s9, s12
	s_add_co_i32 s14, s9, 1
	s_sub_co_i32 s13, s8, s13
	s_delay_alu instid0(SALU_CYCLE_1)
	s_sub_co_i32 s15, s13, s12
	s_cmp_ge_u32 s13, s12
	s_cselect_b32 s9, s14, s9
	s_cselect_b32 s13, s15, s13
	s_add_co_i32 s14, s9, 1
	s_cmp_ge_u32 s13, s12
	s_cselect_b32 s9, s14, s9
	s_delay_alu instid0(SALU_CYCLE_1) | instskip(SKIP_1) | instid1(VALU_DEP_1)
	v_lshl_add_u32 v4, s9, 4, v1
	s_mul_i32 s9, s9, s12
	v_ashrrev_i32_e32 v5, 31, v4
	s_delay_alu instid0(VALU_DEP_1) | instskip(SKIP_1) | instid1(SALU_CYCLE_1)
	v_mul_u64_e32 v[2:3], s[0:1], v[4:5]
	s_sub_co_i32 s0, s8, s9
	v_lshl_add_u32 v0, s0, 4, v0
	v_cmp_gt_i32_e64 s0, s11, v4
	v_mov_b32_e32 v4, 0
	s_delay_alu instid0(VALU_DEP_3)
	v_cmp_gt_i32_e32 vcc_lo, s10, v0
	v_ashrrev_i32_e32 v1, 31, v0
	s_and_b32 s8, vcc_lo, s0
	s_lshl_b64 s[0:1], s[6:7], 2
	s_branch .LBB36_3
.LBB36_2:                               ;   in Loop: Header=BB36_3 Depth=1
	s_wait_xcnt 0x0
	s_or_b32 exec_lo, exec_lo, s6
	s_add_co_i32 s3, s3, 0x10000
	s_delay_alu instid0(SALU_CYCLE_1)
	s_cmp_lt_u32 s3, s2
	s_cbranch_scc0 .LBB36_5
.LBB36_3:                               ; =>This Inner Loop Header: Depth=1
	s_and_saveexec_b32 s6, s8
	s_cbranch_execz .LBB36_2
; %bb.4:                                ;   in Loop: Header=BB36_3 Depth=1
	s_load_b64 s[10:11], s[4:5], s3 offset:0x0 scale_offset
	s_wait_kmcnt 0x0
	s_add_nc_u64 s[10:11], s[10:11], s[0:1]
	s_delay_alu instid0(SALU_CYCLE_1) | instskip(NEXT) | instid1(VALU_DEP_1)
	v_lshl_add_u64 v[6:7], v[2:3], 2, s[10:11]
	v_lshl_add_u64 v[6:7], v[0:1], 2, v[6:7]
	flat_store_b32 v[6:7], v4
	s_branch .LBB36_2
.LBB36_5:
	s_endpgm
	.section	.rodata,"a",@progbits
	.p2align	6, 0x0
	.amdhsa_kernel _ZL31rocblas_geam_zero_matrix_deviceILi16ELi16EPKPfEviiT1_llli
		.amdhsa_group_segment_fixed_size 0
		.amdhsa_private_segment_fixed_size 0
		.amdhsa_kernarg_size 44
		.amdhsa_user_sgpr_count 2
		.amdhsa_user_sgpr_dispatch_ptr 0
		.amdhsa_user_sgpr_queue_ptr 0
		.amdhsa_user_sgpr_kernarg_segment_ptr 1
		.amdhsa_user_sgpr_dispatch_id 0
		.amdhsa_user_sgpr_kernarg_preload_length 0
		.amdhsa_user_sgpr_kernarg_preload_offset 0
		.amdhsa_user_sgpr_private_segment_size 0
		.amdhsa_wavefront_size32 1
		.amdhsa_uses_dynamic_stack 0
		.amdhsa_enable_private_segment 0
		.amdhsa_system_sgpr_workgroup_id_x 1
		.amdhsa_system_sgpr_workgroup_id_y 0
		.amdhsa_system_sgpr_workgroup_id_z 1
		.amdhsa_system_sgpr_workgroup_info 0
		.amdhsa_system_vgpr_workitem_id 1
		.amdhsa_next_free_vgpr 8
		.amdhsa_next_free_sgpr 16
		.amdhsa_named_barrier_count 0
		.amdhsa_reserve_vcc 1
		.amdhsa_float_round_mode_32 0
		.amdhsa_float_round_mode_16_64 0
		.amdhsa_float_denorm_mode_32 3
		.amdhsa_float_denorm_mode_16_64 3
		.amdhsa_fp16_overflow 0
		.amdhsa_memory_ordered 1
		.amdhsa_forward_progress 1
		.amdhsa_inst_pref_size 4
		.amdhsa_round_robin_scheduling 0
		.amdhsa_exception_fp_ieee_invalid_op 0
		.amdhsa_exception_fp_denorm_src 0
		.amdhsa_exception_fp_ieee_div_zero 0
		.amdhsa_exception_fp_ieee_overflow 0
		.amdhsa_exception_fp_ieee_underflow 0
		.amdhsa_exception_fp_ieee_inexact 0
		.amdhsa_exception_int_div_zero 0
	.end_amdhsa_kernel
	.section	.text._ZL31rocblas_geam_zero_matrix_deviceILi16ELi16EPKPfEviiT1_llli,"axG",@progbits,_ZL31rocblas_geam_zero_matrix_deviceILi16ELi16EPKPfEviiT1_llli,comdat
.Lfunc_end36:
	.size	_ZL31rocblas_geam_zero_matrix_deviceILi16ELi16EPKPfEviiT1_llli, .Lfunc_end36-_ZL31rocblas_geam_zero_matrix_deviceILi16ELi16EPKPfEviiT1_llli
                                        ; -- End function
	.set _ZL31rocblas_geam_zero_matrix_deviceILi16ELi16EPKPfEviiT1_llli.num_vgpr, 8
	.set _ZL31rocblas_geam_zero_matrix_deviceILi16ELi16EPKPfEviiT1_llli.num_agpr, 0
	.set _ZL31rocblas_geam_zero_matrix_deviceILi16ELi16EPKPfEviiT1_llli.numbered_sgpr, 16
	.set _ZL31rocblas_geam_zero_matrix_deviceILi16ELi16EPKPfEviiT1_llli.num_named_barrier, 0
	.set _ZL31rocblas_geam_zero_matrix_deviceILi16ELi16EPKPfEviiT1_llli.private_seg_size, 0
	.set _ZL31rocblas_geam_zero_matrix_deviceILi16ELi16EPKPfEviiT1_llli.uses_vcc, 1
	.set _ZL31rocblas_geam_zero_matrix_deviceILi16ELi16EPKPfEviiT1_llli.uses_flat_scratch, 0
	.set _ZL31rocblas_geam_zero_matrix_deviceILi16ELi16EPKPfEviiT1_llli.has_dyn_sized_stack, 0
	.set _ZL31rocblas_geam_zero_matrix_deviceILi16ELi16EPKPfEviiT1_llli.has_recursion, 0
	.set _ZL31rocblas_geam_zero_matrix_deviceILi16ELi16EPKPfEviiT1_llli.has_indirect_call, 0
	.section	.AMDGPU.csdata,"",@progbits
; Kernel info:
; codeLenInByte = 460
; TotalNumSgprs: 18
; NumVgprs: 8
; ScratchSize: 0
; MemoryBound: 0
; FloatMode: 240
; IeeeMode: 1
; LDSByteSize: 0 bytes/workgroup (compile time only)
; SGPRBlocks: 0
; VGPRBlocks: 0
; NumSGPRsForWavesPerEU: 18
; NumVGPRsForWavesPerEU: 8
; NamedBarCnt: 0
; Occupancy: 16
; WaveLimiterHint : 1
; COMPUTE_PGM_RSRC2:SCRATCH_EN: 0
; COMPUTE_PGM_RSRC2:USER_SGPR: 2
; COMPUTE_PGM_RSRC2:TRAP_HANDLER: 0
; COMPUTE_PGM_RSRC2:TGID_X_EN: 1
; COMPUTE_PGM_RSRC2:TGID_Y_EN: 0
; COMPUTE_PGM_RSRC2:TGID_Z_EN: 1
; COMPUTE_PGM_RSRC2:TIDIG_COMP_CNT: 1
	.section	.text._ZL27rocblas_geam_inplace_deviceILi16ELi16EfPKPKfPKPfEv18rocblas_operation_iiT1_S8_T2_lllT3_llli,"axG",@progbits,_ZL27rocblas_geam_inplace_deviceILi16ELi16EfPKPKfPKPfEv18rocblas_operation_iiT1_S8_T2_lllT3_llli,comdat
	.globl	_ZL27rocblas_geam_inplace_deviceILi16ELi16EfPKPKfPKPfEv18rocblas_operation_iiT1_S8_T2_lllT3_llli ; -- Begin function _ZL27rocblas_geam_inplace_deviceILi16ELi16EfPKPKfPKPfEv18rocblas_operation_iiT1_S8_T2_lllT3_llli
	.p2align	8
	.type	_ZL27rocblas_geam_inplace_deviceILi16ELi16EfPKPKfPKPfEv18rocblas_operation_iiT1_S8_T2_lllT3_llli,@function
_ZL27rocblas_geam_inplace_deviceILi16ELi16EfPKPKfPKPfEv18rocblas_operation_iiT1_S8_T2_lllT3_llli: ; @_ZL27rocblas_geam_inplace_deviceILi16ELi16EfPKPKfPKPfEv18rocblas_operation_iiT1_S8_T2_lllT3_llli
; %bb.0:
	s_load_b32 s18, s[0:1], 0x58
	s_bfe_u32 s2, ttmp6, 0x40014
	s_lshr_b32 s3, ttmp7, 16
	s_add_co_i32 s2, s2, 1
	s_bfe_u32 s5, ttmp6, 0x40008
	s_mul_i32 s4, s3, s2
	s_getreg_b32 s2, hwreg(HW_REG_IB_STS2, 6, 4)
	s_add_co_i32 s5, s5, s4
	s_cmp_eq_u32 s2, 0
	s_mov_b32 s17, 0
	s_cselect_b32 s16, s3, s5
	s_wait_kmcnt 0x0
	s_cmp_ge_u32 s16, s18
	s_cbranch_scc1 .LBB37_15
; %bb.1:
	s_clause 0x1
	s_load_b128 s[4:7], s[0:1], 0x0
	s_load_b32 s19, s[0:1], 0x10
	s_bfe_u32 s11, ttmp6, 0x4000c
	s_and_b32 s10, ttmp6, 15
	s_add_co_i32 s11, s11, 1
	s_clause 0x1
	s_load_b64 s[20:21], s[0:1], 0x28
	s_load_b128 s[12:15], s[0:1], 0x18
	s_mul_i32 s11, ttmp9, s11
	s_load_b64 s[22:23], s[0:1], 0x48
	s_add_co_i32 s10, s10, s11
	s_wait_kmcnt 0x0
	s_add_co_i32 s3, s5, -1
	s_delay_alu instid0(SALU_CYCLE_1) | instskip(NEXT) | instid1(SALU_CYCLE_1)
	s_ashr_i32 s8, s3, 31
	s_lshr_b32 s8, s8, 28
	s_delay_alu instid0(SALU_CYCLE_1) | instskip(NEXT) | instid1(SALU_CYCLE_1)
	s_add_co_i32 s3, s3, s8
	s_ashr_i32 s3, s3, 4
	s_delay_alu instid0(SALU_CYCLE_1) | instskip(SKIP_2) | instid1(SALU_CYCLE_3)
	s_add_co_i32 s8, s3, 1
	s_not_b32 s3, s3
	s_cvt_f32_u32 s9, s8
	v_rcp_iflag_f32_e32 v1, s9
	v_nop
	s_delay_alu instid0(TRANS32_DEP_1) | instskip(SKIP_3) | instid1(SALU_CYCLE_3)
	v_readfirstlane_b32 s9, v1
	v_bfe_u32 v1, v0, 10, 10
	v_and_b32_e32 v0, 0x3ff, v0
	s_mul_f32 s9, s9, 0x4f7ffffe
	s_cvt_u32_f32 s9, s9
	s_delay_alu instid0(SALU_CYCLE_3) | instskip(NEXT) | instid1(SALU_CYCLE_1)
	s_mul_i32 s3, s3, s9
	s_mul_hi_u32 s3, s9, s3
	s_delay_alu instid0(SALU_CYCLE_1) | instskip(SKIP_2) | instid1(SALU_CYCLE_1)
	s_add_co_i32 s9, s9, s3
	s_cmp_eq_u32 s2, 0
	s_cselect_b32 s2, ttmp9, s10
	s_mul_hi_u32 s3, s2, s9
	s_delay_alu instid0(SALU_CYCLE_1) | instskip(SKIP_2) | instid1(SALU_CYCLE_1)
	s_mul_i32 s9, s3, s8
	s_add_co_i32 s10, s3, 1
	s_sub_co_i32 s9, s2, s9
	s_sub_co_i32 s11, s9, s8
	s_cmp_ge_u32 s9, s8
	s_cselect_b32 s3, s10, s3
	s_cselect_b32 s9, s11, s9
	s_add_co_i32 s10, s3, 1
	s_cmp_ge_u32 s9, s8
	s_cselect_b32 s3, s10, s3
	s_delay_alu instid0(SALU_CYCLE_1) | instskip(SKIP_4) | instid1(VALU_DEP_2)
	s_mul_i32 s8, s3, s8
	v_lshl_add_u32 v2, s3, 4, v1
	s_sub_co_i32 s2, s2, s8
	s_load_b128 s[8:11], s[0:1], 0x38
	v_lshl_add_u32 v4, s2, 4, v0
	v_ashrrev_i32_e32 v3, 31, v2
	v_cmp_gt_i32_e32 vcc_lo, s6, v2
	s_delay_alu instid0(VALU_DEP_3) | instskip(SKIP_1) | instid1(VALU_DEP_4)
	v_ashrrev_i32_e32 v5, 31, v4
	v_cmp_gt_i32_e64 s2, s5, v4
	v_mad_nc_u64_u32 v[6:7], s20, v4, v[2:3]
	s_delay_alu instid0(VALU_DEP_3) | instskip(SKIP_4) | instid1(VALU_DEP_3)
	v_mad_nc_u64_u32 v[8:9], s20, v2, v[4:5]
	v_mad_nc_u64_u32 v[0:1], s22, v2, v[4:5]
	s_and_b32 s5, s2, vcc_lo
	s_cmp_neq_f32 s19, 0
	s_cselect_b32 s6, -1, 0
	v_mad_u32 v7, s21, v4, v7
	s_cmp_eq_u32 s4, 0x6f
	s_cselect_b32 vcc_lo, -1, 0
	s_delay_alu instid0(VALU_DEP_3) | instskip(NEXT) | instid1(VALU_DEP_3)
	v_mad_u32 v9, s21, v2, v9
	v_mad_u32 v1, s23, v2, v1
	s_cmp_neq_f32 s7, 0
	s_cselect_b32 s4, -1, 0
	s_delay_alu instid0(VALU_DEP_3) | instskip(SKIP_3) | instid1(VALU_DEP_3)
	v_mad_u32 v2, s20, v5, v7
	s_wait_kmcnt 0x0
	s_lshl_b64 s[0:1], s[10:11], 2
	s_lshl_b64 s[2:3], s[14:15], 2
	v_mad_u32 v4, s20, v3, v9
	s_delay_alu instid0(VALU_DEP_3) | instskip(NEXT) | instid1(VALU_DEP_2)
	v_mad_u32 v1, s22, v3, v1
	v_cndmask_b32_e32 v3, v2, v4, vcc_lo
	v_cndmask_b32_e32 v2, v6, v8, vcc_lo
	s_branch .LBB37_5
.LBB37_2:                               ;   in Loop: Header=BB37_5 Depth=1
	flat_load_b32 v6, v[4:5]
	s_wait_loadcnt_dscnt 0x0
	v_mul_f32_e32 v6, s7, v6
.LBB37_3:                               ;   in Loop: Header=BB37_5 Depth=1
	flat_store_b32 v[4:5], v6
.LBB37_4:                               ;   in Loop: Header=BB37_5 Depth=1
	s_wait_xcnt 0x0
	s_or_b32 exec_lo, exec_lo, s10
	s_add_co_i32 s16, s16, 0x10000
	s_delay_alu instid0(SALU_CYCLE_1)
	s_cmp_lt_u32 s16, s18
	s_cbranch_scc0 .LBB37_15
.LBB37_5:                               ; =>This Inner Loop Header: Depth=1
	s_and_saveexec_b32 s10, s5
	s_cbranch_execz .LBB37_4
; %bb.6:                                ;   in Loop: Header=BB37_5 Depth=1
	s_load_b64 s[14:15], s[8:9], s16 offset:0x0 scale_offset
	s_and_b32 vcc_lo, exec_lo, s6
	s_wait_kmcnt 0x0
	s_add_nc_u64 s[14:15], s[14:15], s[0:1]
	s_delay_alu instid0(VALU_DEP_3) | instid1(SALU_CYCLE_1)
	v_lshl_add_u64 v[4:5], v[0:1], 2, s[14:15]
	s_cbranch_vccz .LBB37_11
; %bb.7:                                ;   in Loop: Header=BB37_5 Depth=1
	s_lshl_b64 s[14:15], s[16:17], 3
	s_and_b32 vcc_lo, exec_lo, s4
	s_add_nc_u64 s[14:15], s[12:13], s[14:15]
	s_load_b64 s[14:15], s[14:15], 0x0
	s_wait_kmcnt 0x0
	s_wait_xcnt 0x0
	s_add_nc_u64 s[14:15], s[14:15], s[2:3]
	s_delay_alu instid0(SALU_CYCLE_1)
	v_lshl_add_u64 v[6:7], v[2:3], 2, s[14:15]
	flat_load_b32 v6, v[6:7]
	s_wait_loadcnt_dscnt 0x0
	s_wait_xcnt 0x0
	v_mul_f32_e32 v6, s19, v6
	s_cbranch_vccz .LBB37_14
; %bb.8:                                ;   in Loop: Header=BB37_5 Depth=1
	flat_load_b32 v7, v[4:5]
	s_wait_loadcnt_dscnt 0x0
	v_fma_f32 v7, s7, v7, v6
	flat_store_b32 v[4:5], v7
	s_cbranch_execnz .LBB37_10
.LBB37_9:                               ;   in Loop: Header=BB37_5 Depth=1
	flat_store_b32 v[4:5], v6
.LBB37_10:                              ;   in Loop: Header=BB37_5 Depth=1
	s_cbranch_execnz .LBB37_4
	s_branch .LBB37_12
.LBB37_11:                              ;   in Loop: Header=BB37_5 Depth=1
.LBB37_12:                              ;   in Loop: Header=BB37_5 Depth=1
	s_and_not1_b32 vcc_lo, exec_lo, s4
	s_cbranch_vccz .LBB37_2
; %bb.13:                               ;   in Loop: Header=BB37_5 Depth=1
	s_wait_xcnt 0x0
	v_mov_b32_e32 v6, 0
	s_branch .LBB37_3
.LBB37_14:                              ;   in Loop: Header=BB37_5 Depth=1
	s_branch .LBB37_9
.LBB37_15:
	s_endpgm
	.section	.rodata,"a",@progbits
	.p2align	6, 0x0
	.amdhsa_kernel _ZL27rocblas_geam_inplace_deviceILi16ELi16EfPKPKfPKPfEv18rocblas_operation_iiT1_S8_T2_lllT3_llli
		.amdhsa_group_segment_fixed_size 0
		.amdhsa_private_segment_fixed_size 0
		.amdhsa_kernarg_size 92
		.amdhsa_user_sgpr_count 2
		.amdhsa_user_sgpr_dispatch_ptr 0
		.amdhsa_user_sgpr_queue_ptr 0
		.amdhsa_user_sgpr_kernarg_segment_ptr 1
		.amdhsa_user_sgpr_dispatch_id 0
		.amdhsa_user_sgpr_kernarg_preload_length 0
		.amdhsa_user_sgpr_kernarg_preload_offset 0
		.amdhsa_user_sgpr_private_segment_size 0
		.amdhsa_wavefront_size32 1
		.amdhsa_uses_dynamic_stack 0
		.amdhsa_enable_private_segment 0
		.amdhsa_system_sgpr_workgroup_id_x 1
		.amdhsa_system_sgpr_workgroup_id_y 0
		.amdhsa_system_sgpr_workgroup_id_z 1
		.amdhsa_system_sgpr_workgroup_info 0
		.amdhsa_system_vgpr_workitem_id 1
		.amdhsa_next_free_vgpr 10
		.amdhsa_next_free_sgpr 24
		.amdhsa_named_barrier_count 0
		.amdhsa_reserve_vcc 1
		.amdhsa_float_round_mode_32 0
		.amdhsa_float_round_mode_16_64 0
		.amdhsa_float_denorm_mode_32 3
		.amdhsa_float_denorm_mode_16_64 3
		.amdhsa_fp16_overflow 0
		.amdhsa_memory_ordered 1
		.amdhsa_forward_progress 1
		.amdhsa_inst_pref_size 7
		.amdhsa_round_robin_scheduling 0
		.amdhsa_exception_fp_ieee_invalid_op 0
		.amdhsa_exception_fp_denorm_src 0
		.amdhsa_exception_fp_ieee_div_zero 0
		.amdhsa_exception_fp_ieee_overflow 0
		.amdhsa_exception_fp_ieee_underflow 0
		.amdhsa_exception_fp_ieee_inexact 0
		.amdhsa_exception_int_div_zero 0
	.end_amdhsa_kernel
	.section	.text._ZL27rocblas_geam_inplace_deviceILi16ELi16EfPKPKfPKPfEv18rocblas_operation_iiT1_S8_T2_lllT3_llli,"axG",@progbits,_ZL27rocblas_geam_inplace_deviceILi16ELi16EfPKPKfPKPfEv18rocblas_operation_iiT1_S8_T2_lllT3_llli,comdat
.Lfunc_end37:
	.size	_ZL27rocblas_geam_inplace_deviceILi16ELi16EfPKPKfPKPfEv18rocblas_operation_iiT1_S8_T2_lllT3_llli, .Lfunc_end37-_ZL27rocblas_geam_inplace_deviceILi16ELi16EfPKPKfPKPfEv18rocblas_operation_iiT1_S8_T2_lllT3_llli
                                        ; -- End function
	.set _ZL27rocblas_geam_inplace_deviceILi16ELi16EfPKPKfPKPfEv18rocblas_operation_iiT1_S8_T2_lllT3_llli.num_vgpr, 10
	.set _ZL27rocblas_geam_inplace_deviceILi16ELi16EfPKPKfPKPfEv18rocblas_operation_iiT1_S8_T2_lllT3_llli.num_agpr, 0
	.set _ZL27rocblas_geam_inplace_deviceILi16ELi16EfPKPKfPKPfEv18rocblas_operation_iiT1_S8_T2_lllT3_llli.numbered_sgpr, 24
	.set _ZL27rocblas_geam_inplace_deviceILi16ELi16EfPKPKfPKPfEv18rocblas_operation_iiT1_S8_T2_lllT3_llli.num_named_barrier, 0
	.set _ZL27rocblas_geam_inplace_deviceILi16ELi16EfPKPKfPKPfEv18rocblas_operation_iiT1_S8_T2_lllT3_llli.private_seg_size, 0
	.set _ZL27rocblas_geam_inplace_deviceILi16ELi16EfPKPKfPKPfEv18rocblas_operation_iiT1_S8_T2_lllT3_llli.uses_vcc, 1
	.set _ZL27rocblas_geam_inplace_deviceILi16ELi16EfPKPKfPKPfEv18rocblas_operation_iiT1_S8_T2_lllT3_llli.uses_flat_scratch, 0
	.set _ZL27rocblas_geam_inplace_deviceILi16ELi16EfPKPKfPKPfEv18rocblas_operation_iiT1_S8_T2_lllT3_llli.has_dyn_sized_stack, 0
	.set _ZL27rocblas_geam_inplace_deviceILi16ELi16EfPKPKfPKPfEv18rocblas_operation_iiT1_S8_T2_lllT3_llli.has_recursion, 0
	.set _ZL27rocblas_geam_inplace_deviceILi16ELi16EfPKPKfPKPfEv18rocblas_operation_iiT1_S8_T2_lllT3_llli.has_indirect_call, 0
	.section	.AMDGPU.csdata,"",@progbits
; Kernel info:
; codeLenInByte = 776
; TotalNumSgprs: 26
; NumVgprs: 10
; ScratchSize: 0
; MemoryBound: 0
; FloatMode: 240
; IeeeMode: 1
; LDSByteSize: 0 bytes/workgroup (compile time only)
; SGPRBlocks: 0
; VGPRBlocks: 0
; NumSGPRsForWavesPerEU: 26
; NumVGPRsForWavesPerEU: 10
; NamedBarCnt: 0
; Occupancy: 16
; WaveLimiterHint : 1
; COMPUTE_PGM_RSRC2:SCRATCH_EN: 0
; COMPUTE_PGM_RSRC2:USER_SGPR: 2
; COMPUTE_PGM_RSRC2:TRAP_HANDLER: 0
; COMPUTE_PGM_RSRC2:TGID_X_EN: 1
; COMPUTE_PGM_RSRC2:TGID_Y_EN: 0
; COMPUTE_PGM_RSRC2:TGID_Z_EN: 1
; COMPUTE_PGM_RSRC2:TIDIG_COMP_CNT: 1
	.section	.text._ZL27rocblas_geam_inplace_deviceILi16ELi16EPKfPKS1_PKPfEv18rocblas_operation_iiT1_S8_T2_lllT3_llli,"axG",@progbits,_ZL27rocblas_geam_inplace_deviceILi16ELi16EPKfPKS1_PKPfEv18rocblas_operation_iiT1_S8_T2_lllT3_llli,comdat
	.globl	_ZL27rocblas_geam_inplace_deviceILi16ELi16EPKfPKS1_PKPfEv18rocblas_operation_iiT1_S8_T2_lllT3_llli ; -- Begin function _ZL27rocblas_geam_inplace_deviceILi16ELi16EPKfPKS1_PKPfEv18rocblas_operation_iiT1_S8_T2_lllT3_llli
	.p2align	8
	.type	_ZL27rocblas_geam_inplace_deviceILi16ELi16EPKfPKS1_PKPfEv18rocblas_operation_iiT1_S8_T2_lllT3_llli,@function
_ZL27rocblas_geam_inplace_deviceILi16ELi16EPKfPKS1_PKPfEv18rocblas_operation_iiT1_S8_T2_lllT3_llli: ; @_ZL27rocblas_geam_inplace_deviceILi16ELi16EPKfPKS1_PKPfEv18rocblas_operation_iiT1_S8_T2_lllT3_llli
; %bb.0:
	s_load_b32 s19, s[0:1], 0x60
	s_bfe_u32 s2, ttmp6, 0x40014
	s_lshr_b32 s3, ttmp7, 16
	s_add_co_i32 s2, s2, 1
	s_bfe_u32 s5, ttmp6, 0x40008
	s_mul_i32 s2, s3, s2
	s_getreg_b32 s4, hwreg(HW_REG_IB_STS2, 6, 4)
	s_add_co_i32 s5, s5, s2
	s_cmp_eq_u32 s4, 0
	s_cselect_b32 s2, s3, s5
	s_mov_b32 s3, 0
	s_wait_kmcnt 0x0
	s_cmp_ge_u32 s2, s19
	s_cbranch_scc1 .LBB38_15
; %bb.1:
	s_clause 0x1
	s_load_b96 s[16:18], s[0:1], 0x0
	s_load_b64 s[20:21], s[0:1], 0x30
	s_bfe_u32 s9, ttmp6, 0x4000c
	s_and_b32 s8, ttmp6, 15
	s_add_co_i32 s9, s9, 1
	s_clause 0x1
	s_load_b64 s[22:23], s[0:1], 0x50
	s_load_b128 s[12:15], s[0:1], 0x40
	s_mul_i32 s9, ttmp9, s9
	s_delay_alu instid0(SALU_CYCLE_1) | instskip(SKIP_2) | instid1(SALU_CYCLE_1)
	s_add_co_i32 s8, s8, s9
	s_wait_kmcnt 0x0
	s_add_co_i32 s5, s17, -1
	s_ashr_i32 s6, s5, 31
	s_delay_alu instid0(SALU_CYCLE_1) | instskip(NEXT) | instid1(SALU_CYCLE_1)
	s_lshr_b32 s6, s6, 28
	s_add_co_i32 s5, s5, s6
	s_delay_alu instid0(SALU_CYCLE_1) | instskip(NEXT) | instid1(SALU_CYCLE_1)
	s_ashr_i32 s5, s5, 4
	s_add_co_i32 s6, s5, 1
	s_not_b32 s5, s5
	s_cvt_f32_u32 s7, s6
	s_delay_alu instid0(SALU_CYCLE_3) | instskip(SKIP_1) | instid1(TRANS32_DEP_1)
	v_rcp_iflag_f32_e32 v1, s7
	v_nop
	v_readfirstlane_b32 s7, v1
	v_bfe_u32 v1, v0, 10, 10
	v_and_b32_e32 v0, 0x3ff, v0
	s_mul_f32 s7, s7, 0x4f7ffffe
	s_delay_alu instid0(SALU_CYCLE_3) | instskip(NEXT) | instid1(SALU_CYCLE_3)
	s_cvt_u32_f32 s7, s7
	s_mul_i32 s5, s5, s7
	s_delay_alu instid0(SALU_CYCLE_1) | instskip(NEXT) | instid1(SALU_CYCLE_1)
	s_mul_hi_u32 s5, s7, s5
	s_add_co_i32 s7, s7, s5
	s_cmp_eq_u32 s4, 0
	s_cselect_b32 s4, ttmp9, s8
	s_delay_alu instid0(SALU_CYCLE_1) | instskip(NEXT) | instid1(SALU_CYCLE_1)
	s_mul_hi_u32 s5, s4, s7
	s_mul_i32 s7, s5, s6
	s_add_co_i32 s8, s5, 1
	s_sub_co_i32 s7, s4, s7
	s_delay_alu instid0(SALU_CYCLE_1)
	s_sub_co_i32 s9, s7, s6
	s_cmp_ge_u32 s7, s6
	s_cselect_b32 s5, s8, s5
	s_cselect_b32 s7, s9, s7
	s_add_co_i32 s8, s5, 1
	s_cmp_ge_u32 s7, s6
	s_cselect_b32 s5, s8, s5
	s_delay_alu instid0(SALU_CYCLE_1) | instskip(SKIP_2) | instid1(SALU_CYCLE_1)
	s_mul_i32 s6, s5, s6
	v_lshl_add_u32 v2, s5, 4, v1
	s_sub_co_i32 s4, s4, s6
	v_lshl_add_u32 v4, s4, 4, v0
	s_load_b256 s[4:11], s[0:1], 0x10
	s_delay_alu instid0(VALU_DEP_2) | instskip(SKIP_1) | instid1(VALU_DEP_3)
	v_ashrrev_i32_e32 v3, 31, v2
	v_cmp_gt_i32_e32 vcc_lo, s18, v2
	v_ashrrev_i32_e32 v5, 31, v4
	s_wait_xcnt 0x0
	v_cmp_gt_i32_e64 s0, s17, v4
	v_mad_nc_u64_u32 v[6:7], s20, v4, v[2:3]
	s_delay_alu instid0(VALU_DEP_3)
	v_mad_nc_u64_u32 v[8:9], s20, v2, v[4:5]
	v_mad_nc_u64_u32 v[0:1], s22, v2, v[4:5]
	s_and_b32 s17, s0, vcc_lo
	s_cmp_eq_u32 s16, 0x6f
	s_cselect_b32 vcc_lo, -1, 0
	s_lshl_b64 s[0:1], s[14:15], 2
	s_delay_alu instid0(VALU_DEP_3) | instskip(SKIP_2) | instid1(VALU_DEP_3)
	v_mad_u32 v7, s21, v4, v7
	s_wait_kmcnt 0x0
	s_lshl_b64 s[10:11], s[10:11], 2
	v_mad_u32 v9, s21, v2, v9
	s_delay_alu instid0(VALU_DEP_3) | instskip(NEXT) | instid1(VALU_DEP_3)
	v_mad_u32 v1, s23, v2, v1
	v_mad_u32 v2, s20, v5, v7
	s_delay_alu instid0(VALU_DEP_3) | instskip(NEXT) | instid1(VALU_DEP_3)
	v_mad_u32 v5, s20, v3, v9
	v_mad_u32 v1, s22, v3, v1
	s_delay_alu instid0(VALU_DEP_2)
	v_cndmask_b32_e32 v3, v2, v5, vcc_lo
	v_dual_cndmask_b32 v2, v6, v8, vcc_lo :: v_dual_mov_b32 v6, 0
	s_branch .LBB38_5
.LBB38_2:                               ;   in Loop: Header=BB38_5 Depth=1
	flat_load_b32 v7, v[4:5]
	s_wait_loadcnt_dscnt 0x0
	v_mul_f32_e32 v7, s15, v7
.LBB38_3:                               ;   in Loop: Header=BB38_5 Depth=1
	flat_store_b32 v[4:5], v7
.LBB38_4:                               ;   in Loop: Header=BB38_5 Depth=1
	s_wait_xcnt 0x0
	s_or_b32 exec_lo, exec_lo, s14
	s_add_co_i32 s2, s2, 0x10000
	s_delay_alu instid0(SALU_CYCLE_1)
	s_cmp_lt_u32 s2, s19
	s_cbranch_scc0 .LBB38_15
.LBB38_5:                               ; =>This Inner Loop Header: Depth=1
	s_and_saveexec_b32 s14, s17
	s_cbranch_execz .LBB38_4
; %bb.6:                                ;   in Loop: Header=BB38_5 Depth=1
	s_clause 0x1
	global_load_b32 v7, v6, s[6:7]
	global_load_b32 v4, v6, s[4:5]
	s_load_b64 s[20:21], s[12:13], s2 offset:0x0 scale_offset
	s_wait_kmcnt 0x0
	s_add_nc_u64 s[20:21], s[20:21], s[0:1]
	s_wait_loadcnt 0x1
	v_cmp_neq_f32_e32 vcc_lo, 0, v7
	s_wait_loadcnt 0x0
	v_readfirstlane_b32 s15, v4
	v_lshl_add_u64 v[4:5], v[0:1], 2, s[20:21]
	s_cbranch_vccz .LBB38_11
; %bb.7:                                ;   in Loop: Header=BB38_5 Depth=1
	s_lshl_b64 s[20:21], s[2:3], 3
	s_cmp_neq_f32 s15, 0
	s_add_nc_u64 s[20:21], s[8:9], s[20:21]
	s_load_b64 s[20:21], s[20:21], 0x0
	s_wait_kmcnt 0x0
	s_wait_xcnt 0x0
	s_add_nc_u64 s[20:21], s[20:21], s[10:11]
	s_delay_alu instid0(SALU_CYCLE_1)
	v_lshl_add_u64 v[8:9], v[2:3], 2, s[20:21]
	flat_load_b32 v8, v[8:9]
	s_wait_loadcnt_dscnt 0x0
	v_mul_f32_e32 v7, v7, v8
	s_cbranch_scc0 .LBB38_14
; %bb.8:                                ;   in Loop: Header=BB38_5 Depth=1
	flat_load_b32 v8, v[4:5]
	s_wait_loadcnt_dscnt 0x0
	v_fma_f32 v8, s15, v8, v7
	flat_store_b32 v[4:5], v8
	s_cbranch_execnz .LBB38_10
.LBB38_9:                               ;   in Loop: Header=BB38_5 Depth=1
	flat_store_b32 v[4:5], v7
.LBB38_10:                              ;   in Loop: Header=BB38_5 Depth=1
	s_cbranch_execnz .LBB38_4
	s_branch .LBB38_12
.LBB38_11:                              ;   in Loop: Header=BB38_5 Depth=1
.LBB38_12:                              ;   in Loop: Header=BB38_5 Depth=1
	s_cmp_eq_f32 s15, 0
	s_cbranch_scc0 .LBB38_2
; %bb.13:                               ;   in Loop: Header=BB38_5 Depth=1
	s_wait_xcnt 0x0
	v_mov_b32_e32 v7, 0
	s_branch .LBB38_3
.LBB38_14:                              ;   in Loop: Header=BB38_5 Depth=1
	s_branch .LBB38_9
.LBB38_15:
	s_endpgm
	.section	.rodata,"a",@progbits
	.p2align	6, 0x0
	.amdhsa_kernel _ZL27rocblas_geam_inplace_deviceILi16ELi16EPKfPKS1_PKPfEv18rocblas_operation_iiT1_S8_T2_lllT3_llli
		.amdhsa_group_segment_fixed_size 0
		.amdhsa_private_segment_fixed_size 0
		.amdhsa_kernarg_size 100
		.amdhsa_user_sgpr_count 2
		.amdhsa_user_sgpr_dispatch_ptr 0
		.amdhsa_user_sgpr_queue_ptr 0
		.amdhsa_user_sgpr_kernarg_segment_ptr 1
		.amdhsa_user_sgpr_dispatch_id 0
		.amdhsa_user_sgpr_kernarg_preload_length 0
		.amdhsa_user_sgpr_kernarg_preload_offset 0
		.amdhsa_user_sgpr_private_segment_size 0
		.amdhsa_wavefront_size32 1
		.amdhsa_uses_dynamic_stack 0
		.amdhsa_enable_private_segment 0
		.amdhsa_system_sgpr_workgroup_id_x 1
		.amdhsa_system_sgpr_workgroup_id_y 0
		.amdhsa_system_sgpr_workgroup_id_z 1
		.amdhsa_system_sgpr_workgroup_info 0
		.amdhsa_system_vgpr_workitem_id 1
		.amdhsa_next_free_vgpr 10
		.amdhsa_next_free_sgpr 24
		.amdhsa_named_barrier_count 0
		.amdhsa_reserve_vcc 1
		.amdhsa_float_round_mode_32 0
		.amdhsa_float_round_mode_16_64 0
		.amdhsa_float_denorm_mode_32 3
		.amdhsa_float_denorm_mode_16_64 3
		.amdhsa_fp16_overflow 0
		.amdhsa_memory_ordered 1
		.amdhsa_forward_progress 1
		.amdhsa_inst_pref_size 7
		.amdhsa_round_robin_scheduling 0
		.amdhsa_exception_fp_ieee_invalid_op 0
		.amdhsa_exception_fp_denorm_src 0
		.amdhsa_exception_fp_ieee_div_zero 0
		.amdhsa_exception_fp_ieee_overflow 0
		.amdhsa_exception_fp_ieee_underflow 0
		.amdhsa_exception_fp_ieee_inexact 0
		.amdhsa_exception_int_div_zero 0
	.end_amdhsa_kernel
	.section	.text._ZL27rocblas_geam_inplace_deviceILi16ELi16EPKfPKS1_PKPfEv18rocblas_operation_iiT1_S8_T2_lllT3_llli,"axG",@progbits,_ZL27rocblas_geam_inplace_deviceILi16ELi16EPKfPKS1_PKPfEv18rocblas_operation_iiT1_S8_T2_lllT3_llli,comdat
.Lfunc_end38:
	.size	_ZL27rocblas_geam_inplace_deviceILi16ELi16EPKfPKS1_PKPfEv18rocblas_operation_iiT1_S8_T2_lllT3_llli, .Lfunc_end38-_ZL27rocblas_geam_inplace_deviceILi16ELi16EPKfPKS1_PKPfEv18rocblas_operation_iiT1_S8_T2_lllT3_llli
                                        ; -- End function
	.set _ZL27rocblas_geam_inplace_deviceILi16ELi16EPKfPKS1_PKPfEv18rocblas_operation_iiT1_S8_T2_lllT3_llli.num_vgpr, 10
	.set _ZL27rocblas_geam_inplace_deviceILi16ELi16EPKfPKS1_PKPfEv18rocblas_operation_iiT1_S8_T2_lllT3_llli.num_agpr, 0
	.set _ZL27rocblas_geam_inplace_deviceILi16ELi16EPKfPKS1_PKPfEv18rocblas_operation_iiT1_S8_T2_lllT3_llli.numbered_sgpr, 24
	.set _ZL27rocblas_geam_inplace_deviceILi16ELi16EPKfPKS1_PKPfEv18rocblas_operation_iiT1_S8_T2_lllT3_llli.num_named_barrier, 0
	.set _ZL27rocblas_geam_inplace_deviceILi16ELi16EPKfPKS1_PKPfEv18rocblas_operation_iiT1_S8_T2_lllT3_llli.private_seg_size, 0
	.set _ZL27rocblas_geam_inplace_deviceILi16ELi16EPKfPKS1_PKPfEv18rocblas_operation_iiT1_S8_T2_lllT3_llli.uses_vcc, 1
	.set _ZL27rocblas_geam_inplace_deviceILi16ELi16EPKfPKS1_PKPfEv18rocblas_operation_iiT1_S8_T2_lllT3_llli.uses_flat_scratch, 0
	.set _ZL27rocblas_geam_inplace_deviceILi16ELi16EPKfPKS1_PKPfEv18rocblas_operation_iiT1_S8_T2_lllT3_llli.has_dyn_sized_stack, 0
	.set _ZL27rocblas_geam_inplace_deviceILi16ELi16EPKfPKS1_PKPfEv18rocblas_operation_iiT1_S8_T2_lllT3_llli.has_recursion, 0
	.set _ZL27rocblas_geam_inplace_deviceILi16ELi16EPKfPKS1_PKPfEv18rocblas_operation_iiT1_S8_T2_lllT3_llli.has_indirect_call, 0
	.section	.AMDGPU.csdata,"",@progbits
; Kernel info:
; codeLenInByte = 804
; TotalNumSgprs: 26
; NumVgprs: 10
; ScratchSize: 0
; MemoryBound: 0
; FloatMode: 240
; IeeeMode: 1
; LDSByteSize: 0 bytes/workgroup (compile time only)
; SGPRBlocks: 0
; VGPRBlocks: 0
; NumSGPRsForWavesPerEU: 26
; NumVGPRsForWavesPerEU: 10
; NamedBarCnt: 0
; Occupancy: 16
; WaveLimiterHint : 1
; COMPUTE_PGM_RSRC2:SCRATCH_EN: 0
; COMPUTE_PGM_RSRC2:USER_SGPR: 2
; COMPUTE_PGM_RSRC2:TRAP_HANDLER: 0
; COMPUTE_PGM_RSRC2:TGID_X_EN: 1
; COMPUTE_PGM_RSRC2:TGID_Y_EN: 0
; COMPUTE_PGM_RSRC2:TGID_Z_EN: 1
; COMPUTE_PGM_RSRC2:TIDIG_COMP_CNT: 1
	.section	.text._ZL30rocblas_geam_1D_2matrix_deviceILi256EfPKPKfPKPfEvmT0_T1_llT2_lli,"axG",@progbits,_ZL30rocblas_geam_1D_2matrix_deviceILi256EfPKPKfPKPfEvmT0_T1_llT2_lli,comdat
	.globl	_ZL30rocblas_geam_1D_2matrix_deviceILi256EfPKPKfPKPfEvmT0_T1_llT2_lli ; -- Begin function _ZL30rocblas_geam_1D_2matrix_deviceILi256EfPKPKfPKPfEvmT0_T1_llT2_lli
	.p2align	8
	.type	_ZL30rocblas_geam_1D_2matrix_deviceILi256EfPKPKfPKPfEvmT0_T1_llT2_lli,@function
_ZL30rocblas_geam_1D_2matrix_deviceILi256EfPKPKfPKPfEvmT0_T1_llT2_lli: ; @_ZL30rocblas_geam_1D_2matrix_deviceILi256EfPKPKfPKPfEvmT0_T1_llT2_lli
; %bb.0:
	s_load_b32 s15, s[0:1], 0x40
	s_bfe_u32 s2, ttmp6, 0x40014
	s_lshr_b32 s3, ttmp7, 16
	s_add_co_i32 s2, s2, 1
	s_bfe_u32 s4, ttmp6, 0x40008
	s_mul_i32 s2, s3, s2
	s_getreg_b32 s16, hwreg(HW_REG_IB_STS2, 6, 4)
	s_add_co_i32 s4, s4, s2
	s_cmp_eq_u32 s16, 0
	s_cselect_b32 s2, s3, s4
	s_mov_b32 s3, 0
	s_wait_kmcnt 0x0
	s_cmp_ge_u32 s2, s15
	s_cbranch_scc1 .LBB39_8
; %bb.1:
	s_clause 0x3
	s_load_b32 s17, s[0:1], 0x54
	s_load_b128 s[4:7], s[0:1], 0x28
	s_load_b96 s[12:14], s[0:1], 0x0
	s_load_b128 s[8:11], s[0:1], 0x10
	s_wait_xcnt 0x0
	s_bfe_u32 s0, ttmp6, 0x4000c
	s_and_b32 s1, ttmp6, 15
	s_add_co_i32 s0, s0, 1
	v_mov_b32_e32 v1, 0
	s_mul_i32 s0, ttmp9, s0
	s_delay_alu instid0(SALU_CYCLE_1)
	s_add_co_i32 s1, s1, s0
	s_wait_kmcnt 0x0
	s_and_b32 s17, s17, 0xffff
	s_cmp_eq_u32 s16, 0
	s_cselect_b32 s0, ttmp9, s1
	s_cmp_neq_f32 s14, 0
	v_mad_nc_u64_u32 v[0:1], s17, s0, v[0:1]
	s_cselect_b32 s1, -1, 0
	s_lshl_b64 s[10:11], s[10:11], 2
	s_lshl_b64 s[6:7], s[6:7], 2
	s_delay_alu instid0(VALU_DEP_1)
	v_cmp_gt_u64_e64 s0, s[12:13], v[0:1]
	s_branch .LBB39_5
.LBB39_2:                               ;   in Loop: Header=BB39_5 Depth=1
	s_lshl_b64 s[16:17], s[2:3], 3
	s_delay_alu instid0(SALU_CYCLE_1) | instskip(SKIP_4) | instid1(SALU_CYCLE_1)
	s_add_nc_u64 s[16:17], s[8:9], s[16:17]
	s_load_b64 s[16:17], s[16:17], 0x0
	s_wait_kmcnt 0x0
	s_wait_xcnt 0x0
	s_add_nc_u64 s[16:17], s[16:17], s[10:11]
	v_lshl_add_u64 v[2:3], v[0:1], 2, s[16:17]
	flat_load_b32 v2, v[2:3]
	s_wait_loadcnt_dscnt 0x0
	s_wait_xcnt 0x0
	v_mul_f32_e32 v2, s14, v2
.LBB39_3:                               ;   in Loop: Header=BB39_5 Depth=1
	s_load_b64 s[16:17], s[4:5], s2 offset:0x0 scale_offset
	s_wait_kmcnt 0x0
	s_add_nc_u64 s[16:17], s[16:17], s[6:7]
	s_delay_alu instid0(SALU_CYCLE_1)
	v_lshl_add_u64 v[4:5], v[0:1], 2, s[16:17]
	flat_store_b32 v[4:5], v2
.LBB39_4:                               ;   in Loop: Header=BB39_5 Depth=1
	s_wait_xcnt 0x0
	s_or_b32 exec_lo, exec_lo, s12
	s_add_co_i32 s2, s2, 0x10000
	s_delay_alu instid0(SALU_CYCLE_1)
	s_cmp_lt_u32 s2, s15
	s_cbranch_scc0 .LBB39_8
.LBB39_5:                               ; =>This Inner Loop Header: Depth=1
	s_delay_alu instid0(VALU_DEP_1)
	s_and_saveexec_b32 s12, s0
	s_cbranch_execz .LBB39_4
; %bb.6:                                ;   in Loop: Header=BB39_5 Depth=1
	s_and_not1_b32 vcc_lo, exec_lo, s1
	s_cbranch_vccz .LBB39_2
; %bb.7:                                ;   in Loop: Header=BB39_5 Depth=1
	v_mov_b32_e32 v2, 0
	s_branch .LBB39_3
.LBB39_8:
	s_endpgm
	.section	.rodata,"a",@progbits
	.p2align	6, 0x0
	.amdhsa_kernel _ZL30rocblas_geam_1D_2matrix_deviceILi256EfPKPKfPKPfEvmT0_T1_llT2_lli
		.amdhsa_group_segment_fixed_size 0
		.amdhsa_private_segment_fixed_size 0
		.amdhsa_kernarg_size 328
		.amdhsa_user_sgpr_count 2
		.amdhsa_user_sgpr_dispatch_ptr 0
		.amdhsa_user_sgpr_queue_ptr 0
		.amdhsa_user_sgpr_kernarg_segment_ptr 1
		.amdhsa_user_sgpr_dispatch_id 0
		.amdhsa_user_sgpr_kernarg_preload_length 0
		.amdhsa_user_sgpr_kernarg_preload_offset 0
		.amdhsa_user_sgpr_private_segment_size 0
		.amdhsa_wavefront_size32 1
		.amdhsa_uses_dynamic_stack 0
		.amdhsa_enable_private_segment 0
		.amdhsa_system_sgpr_workgroup_id_x 1
		.amdhsa_system_sgpr_workgroup_id_y 0
		.amdhsa_system_sgpr_workgroup_id_z 1
		.amdhsa_system_sgpr_workgroup_info 0
		.amdhsa_system_vgpr_workitem_id 0
		.amdhsa_next_free_vgpr 6
		.amdhsa_next_free_sgpr 18
		.amdhsa_named_barrier_count 0
		.amdhsa_reserve_vcc 1
		.amdhsa_float_round_mode_32 0
		.amdhsa_float_round_mode_16_64 0
		.amdhsa_float_denorm_mode_32 3
		.amdhsa_float_denorm_mode_16_64 3
		.amdhsa_fp16_overflow 0
		.amdhsa_memory_ordered 1
		.amdhsa_forward_progress 1
		.amdhsa_inst_pref_size 3
		.amdhsa_round_robin_scheduling 0
		.amdhsa_exception_fp_ieee_invalid_op 0
		.amdhsa_exception_fp_denorm_src 0
		.amdhsa_exception_fp_ieee_div_zero 0
		.amdhsa_exception_fp_ieee_overflow 0
		.amdhsa_exception_fp_ieee_underflow 0
		.amdhsa_exception_fp_ieee_inexact 0
		.amdhsa_exception_int_div_zero 0
	.end_amdhsa_kernel
	.section	.text._ZL30rocblas_geam_1D_2matrix_deviceILi256EfPKPKfPKPfEvmT0_T1_llT2_lli,"axG",@progbits,_ZL30rocblas_geam_1D_2matrix_deviceILi256EfPKPKfPKPfEvmT0_T1_llT2_lli,comdat
.Lfunc_end39:
	.size	_ZL30rocblas_geam_1D_2matrix_deviceILi256EfPKPKfPKPfEvmT0_T1_llT2_lli, .Lfunc_end39-_ZL30rocblas_geam_1D_2matrix_deviceILi256EfPKPKfPKPfEvmT0_T1_llT2_lli
                                        ; -- End function
	.set _ZL30rocblas_geam_1D_2matrix_deviceILi256EfPKPKfPKPfEvmT0_T1_llT2_lli.num_vgpr, 6
	.set _ZL30rocblas_geam_1D_2matrix_deviceILi256EfPKPKfPKPfEvmT0_T1_llT2_lli.num_agpr, 0
	.set _ZL30rocblas_geam_1D_2matrix_deviceILi256EfPKPKfPKPfEvmT0_T1_llT2_lli.numbered_sgpr, 18
	.set _ZL30rocblas_geam_1D_2matrix_deviceILi256EfPKPKfPKPfEvmT0_T1_llT2_lli.num_named_barrier, 0
	.set _ZL30rocblas_geam_1D_2matrix_deviceILi256EfPKPKfPKPfEvmT0_T1_llT2_lli.private_seg_size, 0
	.set _ZL30rocblas_geam_1D_2matrix_deviceILi256EfPKPKfPKPfEvmT0_T1_llT2_lli.uses_vcc, 1
	.set _ZL30rocblas_geam_1D_2matrix_deviceILi256EfPKPKfPKPfEvmT0_T1_llT2_lli.uses_flat_scratch, 0
	.set _ZL30rocblas_geam_1D_2matrix_deviceILi256EfPKPKfPKPfEvmT0_T1_llT2_lli.has_dyn_sized_stack, 0
	.set _ZL30rocblas_geam_1D_2matrix_deviceILi256EfPKPKfPKPfEvmT0_T1_llT2_lli.has_recursion, 0
	.set _ZL30rocblas_geam_1D_2matrix_deviceILi256EfPKPKfPKPfEvmT0_T1_llT2_lli.has_indirect_call, 0
	.section	.AMDGPU.csdata,"",@progbits
; Kernel info:
; codeLenInByte = 364
; TotalNumSgprs: 20
; NumVgprs: 6
; ScratchSize: 0
; MemoryBound: 0
; FloatMode: 240
; IeeeMode: 1
; LDSByteSize: 0 bytes/workgroup (compile time only)
; SGPRBlocks: 0
; VGPRBlocks: 0
; NumSGPRsForWavesPerEU: 20
; NumVGPRsForWavesPerEU: 6
; NamedBarCnt: 0
; Occupancy: 16
; WaveLimiterHint : 1
; COMPUTE_PGM_RSRC2:SCRATCH_EN: 0
; COMPUTE_PGM_RSRC2:USER_SGPR: 2
; COMPUTE_PGM_RSRC2:TRAP_HANDLER: 0
; COMPUTE_PGM_RSRC2:TGID_X_EN: 1
; COMPUTE_PGM_RSRC2:TGID_Y_EN: 0
; COMPUTE_PGM_RSRC2:TGID_Z_EN: 1
; COMPUTE_PGM_RSRC2:TIDIG_COMP_CNT: 0
	.section	.text._ZL27rocblas_geam_2matrix_deviceILi16ELi16EfPKPKfPKPfEv18rocblas_operation_iiT1_T2_lllT3_llli,"axG",@progbits,_ZL27rocblas_geam_2matrix_deviceILi16ELi16EfPKPKfPKPfEv18rocblas_operation_iiT1_T2_lllT3_llli,comdat
	.globl	_ZL27rocblas_geam_2matrix_deviceILi16ELi16EfPKPKfPKPfEv18rocblas_operation_iiT1_T2_lllT3_llli ; -- Begin function _ZL27rocblas_geam_2matrix_deviceILi16ELi16EfPKPKfPKPfEv18rocblas_operation_iiT1_T2_lllT3_llli
	.p2align	8
	.type	_ZL27rocblas_geam_2matrix_deviceILi16ELi16EfPKPKfPKPfEv18rocblas_operation_iiT1_T2_lllT3_llli,@function
_ZL27rocblas_geam_2matrix_deviceILi16ELi16EfPKPKfPKPfEv18rocblas_operation_iiT1_T2_lllT3_llli: ; @_ZL27rocblas_geam_2matrix_deviceILi16ELi16EfPKPKfPKPfEv18rocblas_operation_iiT1_T2_lllT3_llli
; %bb.0:
	s_load_b32 s16, s[0:1], 0x50
	s_bfe_u32 s2, ttmp6, 0x40014
	s_lshr_b32 s3, ttmp7, 16
	s_add_co_i32 s2, s2, 1
	s_bfe_u32 s4, ttmp6, 0x40008
	s_mul_i32 s2, s3, s2
	s_getreg_b32 s12, hwreg(HW_REG_IB_STS2, 6, 4)
	s_add_co_i32 s4, s4, s2
	s_cmp_eq_u32 s12, 0
	s_cselect_b32 s2, s3, s4
	s_mov_b32 s3, 0
	s_wait_kmcnt 0x0
	s_cmp_ge_u32 s2, s16
	s_cbranch_scc1 .LBB40_8
; %bb.1:
	s_load_b256 s[4:11], s[0:1], 0x0
	s_bfe_u32 s18, ttmp6, 0x4000c
	s_and_b32 s17, ttmp6, 15
	s_add_co_i32 s18, s18, 1
	s_delay_alu instid0(SALU_CYCLE_1) | instskip(NEXT) | instid1(SALU_CYCLE_1)
	s_mul_i32 s18, ttmp9, s18
	s_add_co_i32 s17, s17, s18
	s_load_b64 s[18:19], s[0:1], 0x20
	s_wait_kmcnt 0x0
	s_add_co_i32 s13, s5, -1
	s_delay_alu instid0(SALU_CYCLE_1) | instskip(NEXT) | instid1(SALU_CYCLE_1)
	s_ashr_i32 s14, s13, 31
	s_lshr_b32 s14, s14, 28
	s_delay_alu instid0(SALU_CYCLE_1) | instskip(NEXT) | instid1(SALU_CYCLE_1)
	s_add_co_i32 s13, s13, s14
	s_ashr_i32 s13, s13, 4
	s_delay_alu instid0(SALU_CYCLE_1) | instskip(SKIP_2) | instid1(SALU_CYCLE_3)
	s_add_co_i32 s14, s13, 1
	s_not_b32 s13, s13
	s_cvt_f32_u32 s15, s14
	v_rcp_iflag_f32_e32 v1, s15
	v_nop
	s_delay_alu instid0(TRANS32_DEP_1) | instskip(SKIP_3) | instid1(SALU_CYCLE_3)
	v_readfirstlane_b32 s15, v1
	v_bfe_u32 v1, v0, 10, 10
	v_and_b32_e32 v0, 0x3ff, v0
	s_mul_f32 s15, s15, 0x4f7ffffe
	s_cvt_u32_f32 s15, s15
	s_delay_alu instid0(SALU_CYCLE_3) | instskip(NEXT) | instid1(SALU_CYCLE_1)
	s_mul_i32 s13, s13, s15
	s_mul_hi_u32 s13, s15, s13
	s_delay_alu instid0(SALU_CYCLE_1) | instskip(SKIP_2) | instid1(SALU_CYCLE_1)
	s_add_co_i32 s15, s15, s13
	s_cmp_eq_u32 s12, 0
	s_cselect_b32 s12, ttmp9, s17
	s_mul_hi_u32 s13, s12, s15
	s_delay_alu instid0(SALU_CYCLE_1) | instskip(SKIP_2) | instid1(SALU_CYCLE_1)
	s_mul_i32 s15, s13, s14
	s_add_co_i32 s17, s13, 1
	s_sub_co_i32 s15, s12, s15
	s_sub_co_i32 s20, s15, s14
	s_cmp_ge_u32 s15, s14
	s_cselect_b32 s13, s17, s13
	s_cselect_b32 s15, s20, s15
	s_add_co_i32 s17, s13, 1
	s_cmp_ge_u32 s15, s14
	s_load_b64 s[20:21], s[0:1], 0x40
	s_cselect_b32 s13, s17, s13
	s_delay_alu instid0(SALU_CYCLE_1) | instskip(SKIP_2) | instid1(SALU_CYCLE_1)
	s_mul_i32 s14, s13, s14
	v_lshl_add_u32 v4, s13, 4, v1
	s_sub_co_i32 s12, s12, s14
	v_lshl_add_u32 v0, s12, 4, v0
	s_load_b128 s[12:15], s[0:1], 0x30
	s_delay_alu instid0(VALU_DEP_2) | instskip(SKIP_3) | instid1(VALU_DEP_2)
	v_cmp_gt_i32_e32 vcc_lo, s6, v4
	v_ashrrev_i32_e32 v5, 31, v4
	s_wait_xcnt 0x0
	v_cmp_gt_i32_e64 s0, s5, v0
	v_mad_nc_u64_u32 v[6:7], s18, v0, v[4:5]
	s_and_b32 s6, s0, vcc_lo
	s_cmp_neq_f32 s7, 0
	s_wait_kmcnt 0x0
	v_mul_u64_e32 v[2:3], s[20:21], v[4:5]
	s_cselect_b32 s17, -1, 0
	s_cmp_eq_u32 s4, 0x6f
	s_cselect_b32 vcc_lo, -1, 0
	v_ashrrev_i32_e32 v1, 31, v0
	s_delay_alu instid0(VALU_DEP_3) | instskip(SKIP_2) | instid1(VALU_DEP_2)
	v_mad_u32 v7, s19, v0, v7
	s_lshl_b64 s[0:1], s[10:11], 2
	s_lshl_b64 s[4:5], s[14:15], 2
	v_mad_nc_u64_u32 v[8:9], s18, v4, v[0:1]
	s_delay_alu instid0(VALU_DEP_1) | instskip(NEXT) | instid1(VALU_DEP_3)
	v_mad_u32 v9, s19, v4, v9
	v_mad_u32 v4, s18, v1, v7
	s_delay_alu instid0(VALU_DEP_2) | instskip(NEXT) | instid1(VALU_DEP_1)
	v_mad_u32 v5, s18, v5, v9
	v_dual_cndmask_b32 v5, v4, v5 :: v_dual_cndmask_b32 v4, v6, v8
	s_branch .LBB40_5
.LBB40_2:                               ;   in Loop: Header=BB40_5 Depth=1
	s_lshl_b64 s[14:15], s[2:3], 3
	s_delay_alu instid0(SALU_CYCLE_1) | instskip(SKIP_4) | instid1(SALU_CYCLE_1)
	s_add_nc_u64 s[14:15], s[8:9], s[14:15]
	s_load_b64 s[14:15], s[14:15], 0x0
	s_wait_kmcnt 0x0
	s_wait_xcnt 0x0
	s_add_nc_u64 s[14:15], s[14:15], s[0:1]
	v_lshl_add_u64 v[6:7], v[4:5], 2, s[14:15]
	flat_load_b32 v6, v[6:7]
	s_wait_loadcnt_dscnt 0x0
	s_wait_xcnt 0x0
	v_mul_f32_e32 v6, s7, v6
.LBB40_3:                               ;   in Loop: Header=BB40_5 Depth=1
	s_load_b64 s[14:15], s[12:13], s2 offset:0x0 scale_offset
	s_wait_kmcnt 0x0
	s_add_nc_u64 s[14:15], s[14:15], s[4:5]
	s_delay_alu instid0(SALU_CYCLE_1) | instskip(NEXT) | instid1(VALU_DEP_1)
	v_lshl_add_u64 v[8:9], v[2:3], 2, s[14:15]
	v_lshl_add_u64 v[8:9], v[0:1], 2, v[8:9]
	flat_store_b32 v[8:9], v6
.LBB40_4:                               ;   in Loop: Header=BB40_5 Depth=1
	s_wait_xcnt 0x0
	s_or_b32 exec_lo, exec_lo, s10
	s_add_co_i32 s2, s2, 0x10000
	s_delay_alu instid0(SALU_CYCLE_1)
	s_cmp_lt_u32 s2, s16
	s_cbranch_scc0 .LBB40_8
.LBB40_5:                               ; =>This Inner Loop Header: Depth=1
	s_and_saveexec_b32 s10, s6
	s_cbranch_execz .LBB40_4
; %bb.6:                                ;   in Loop: Header=BB40_5 Depth=1
	s_and_not1_b32 vcc_lo, exec_lo, s17
	s_cbranch_vccz .LBB40_2
; %bb.7:                                ;   in Loop: Header=BB40_5 Depth=1
	v_mov_b32_e32 v6, 0
	s_branch .LBB40_3
.LBB40_8:
	s_endpgm
	.section	.rodata,"a",@progbits
	.p2align	6, 0x0
	.amdhsa_kernel _ZL27rocblas_geam_2matrix_deviceILi16ELi16EfPKPKfPKPfEv18rocblas_operation_iiT1_T2_lllT3_llli
		.amdhsa_group_segment_fixed_size 0
		.amdhsa_private_segment_fixed_size 0
		.amdhsa_kernarg_size 84
		.amdhsa_user_sgpr_count 2
		.amdhsa_user_sgpr_dispatch_ptr 0
		.amdhsa_user_sgpr_queue_ptr 0
		.amdhsa_user_sgpr_kernarg_segment_ptr 1
		.amdhsa_user_sgpr_dispatch_id 0
		.amdhsa_user_sgpr_kernarg_preload_length 0
		.amdhsa_user_sgpr_kernarg_preload_offset 0
		.amdhsa_user_sgpr_private_segment_size 0
		.amdhsa_wavefront_size32 1
		.amdhsa_uses_dynamic_stack 0
		.amdhsa_enable_private_segment 0
		.amdhsa_system_sgpr_workgroup_id_x 1
		.amdhsa_system_sgpr_workgroup_id_y 0
		.amdhsa_system_sgpr_workgroup_id_z 1
		.amdhsa_system_sgpr_workgroup_info 0
		.amdhsa_system_vgpr_workitem_id 1
		.amdhsa_next_free_vgpr 10
		.amdhsa_next_free_sgpr 22
		.amdhsa_named_barrier_count 0
		.amdhsa_reserve_vcc 1
		.amdhsa_float_round_mode_32 0
		.amdhsa_float_round_mode_16_64 0
		.amdhsa_float_denorm_mode_32 3
		.amdhsa_float_denorm_mode_16_64 3
		.amdhsa_fp16_overflow 0
		.amdhsa_memory_ordered 1
		.amdhsa_forward_progress 1
		.amdhsa_inst_pref_size 5
		.amdhsa_round_robin_scheduling 0
		.amdhsa_exception_fp_ieee_invalid_op 0
		.amdhsa_exception_fp_denorm_src 0
		.amdhsa_exception_fp_ieee_div_zero 0
		.amdhsa_exception_fp_ieee_overflow 0
		.amdhsa_exception_fp_ieee_underflow 0
		.amdhsa_exception_fp_ieee_inexact 0
		.amdhsa_exception_int_div_zero 0
	.end_amdhsa_kernel
	.section	.text._ZL27rocblas_geam_2matrix_deviceILi16ELi16EfPKPKfPKPfEv18rocblas_operation_iiT1_T2_lllT3_llli,"axG",@progbits,_ZL27rocblas_geam_2matrix_deviceILi16ELi16EfPKPKfPKPfEv18rocblas_operation_iiT1_T2_lllT3_llli,comdat
.Lfunc_end40:
	.size	_ZL27rocblas_geam_2matrix_deviceILi16ELi16EfPKPKfPKPfEv18rocblas_operation_iiT1_T2_lllT3_llli, .Lfunc_end40-_ZL27rocblas_geam_2matrix_deviceILi16ELi16EfPKPKfPKPfEv18rocblas_operation_iiT1_T2_lllT3_llli
                                        ; -- End function
	.set _ZL27rocblas_geam_2matrix_deviceILi16ELi16EfPKPKfPKPfEv18rocblas_operation_iiT1_T2_lllT3_llli.num_vgpr, 10
	.set _ZL27rocblas_geam_2matrix_deviceILi16ELi16EfPKPKfPKPfEv18rocblas_operation_iiT1_T2_lllT3_llli.num_agpr, 0
	.set _ZL27rocblas_geam_2matrix_deviceILi16ELi16EfPKPKfPKPfEv18rocblas_operation_iiT1_T2_lllT3_llli.numbered_sgpr, 22
	.set _ZL27rocblas_geam_2matrix_deviceILi16ELi16EfPKPKfPKPfEv18rocblas_operation_iiT1_T2_lllT3_llli.num_named_barrier, 0
	.set _ZL27rocblas_geam_2matrix_deviceILi16ELi16EfPKPKfPKPfEv18rocblas_operation_iiT1_T2_lllT3_llli.private_seg_size, 0
	.set _ZL27rocblas_geam_2matrix_deviceILi16ELi16EfPKPKfPKPfEv18rocblas_operation_iiT1_T2_lllT3_llli.uses_vcc, 1
	.set _ZL27rocblas_geam_2matrix_deviceILi16ELi16EfPKPKfPKPfEv18rocblas_operation_iiT1_T2_lllT3_llli.uses_flat_scratch, 0
	.set _ZL27rocblas_geam_2matrix_deviceILi16ELi16EfPKPKfPKPfEv18rocblas_operation_iiT1_T2_lllT3_llli.has_dyn_sized_stack, 0
	.set _ZL27rocblas_geam_2matrix_deviceILi16ELi16EfPKPKfPKPfEv18rocblas_operation_iiT1_T2_lllT3_llli.has_recursion, 0
	.set _ZL27rocblas_geam_2matrix_deviceILi16ELi16EfPKPKfPKPfEv18rocblas_operation_iiT1_T2_lllT3_llli.has_indirect_call, 0
	.section	.AMDGPU.csdata,"",@progbits
; Kernel info:
; codeLenInByte = 632
; TotalNumSgprs: 24
; NumVgprs: 10
; ScratchSize: 0
; MemoryBound: 0
; FloatMode: 240
; IeeeMode: 1
; LDSByteSize: 0 bytes/workgroup (compile time only)
; SGPRBlocks: 0
; VGPRBlocks: 0
; NumSGPRsForWavesPerEU: 24
; NumVGPRsForWavesPerEU: 10
; NamedBarCnt: 0
; Occupancy: 16
; WaveLimiterHint : 1
; COMPUTE_PGM_RSRC2:SCRATCH_EN: 0
; COMPUTE_PGM_RSRC2:USER_SGPR: 2
; COMPUTE_PGM_RSRC2:TRAP_HANDLER: 0
; COMPUTE_PGM_RSRC2:TGID_X_EN: 1
; COMPUTE_PGM_RSRC2:TGID_Y_EN: 0
; COMPUTE_PGM_RSRC2:TGID_Z_EN: 1
; COMPUTE_PGM_RSRC2:TIDIG_COMP_CNT: 1
	.section	.text._ZL22rocblas_geam_1D_deviceILi256EfPKPKfPKPfEvmT0_T1_llS7_S8_llT2_lli,"axG",@progbits,_ZL22rocblas_geam_1D_deviceILi256EfPKPKfPKPfEvmT0_T1_llS7_S8_llT2_lli,comdat
	.globl	_ZL22rocblas_geam_1D_deviceILi256EfPKPKfPKPfEvmT0_T1_llS7_S8_llT2_lli ; -- Begin function _ZL22rocblas_geam_1D_deviceILi256EfPKPKfPKPfEvmT0_T1_llS7_S8_llT2_lli
	.p2align	8
	.type	_ZL22rocblas_geam_1D_deviceILi256EfPKPKfPKPfEvmT0_T1_llS7_S8_llT2_lli,@function
_ZL22rocblas_geam_1D_deviceILi256EfPKPKfPKPfEvmT0_T1_llS7_S8_llT2_lli: ; @_ZL22rocblas_geam_1D_deviceILi256EfPKPKfPKPfEvmT0_T1_llS7_S8_llT2_lli
; %bb.0:
	s_load_b32 s19, s[0:1], 0x60
	s_bfe_u32 s2, ttmp6, 0x40014
	s_lshr_b32 s3, ttmp7, 16
	s_add_co_i32 s2, s2, 1
	s_bfe_u32 s4, ttmp6, 0x40008
	s_mul_i32 s2, s3, s2
	s_getreg_b32 s12, hwreg(HW_REG_IB_STS2, 6, 4)
	s_add_co_i32 s4, s4, s2
	s_cmp_eq_u32 s12, 0
	s_cselect_b32 s2, s3, s4
	s_mov_b32 s3, 0
	s_wait_kmcnt 0x0
	s_cmp_ge_u32 s2, s19
	s_cbranch_scc1 .LBB41_14
; %bb.1:
	s_clause 0x3
	s_load_b32 s13, s[0:1], 0x74
	s_load_b96 s[16:18], s[0:1], 0x0
	s_load_b128 s[4:7], s[0:1], 0x48
	s_load_b32 s20, s[0:1], 0x28
	s_bfe_u32 s14, ttmp6, 0x4000c
	s_and_b32 s15, ttmp6, 15
	s_add_co_i32 s14, s14, 1
	v_mov_b32_e32 v1, 0
	s_mul_i32 s14, ttmp9, s14
	s_load_b128 s[8:11], s[0:1], 0x10
	s_add_co_i32 s21, s15, s14
	s_wait_kmcnt 0x0
	s_and_b32 s22, s13, 0xffff
	s_cmp_eq_u32 s12, 0
	s_load_b128 s[12:15], s[0:1], 0x30
	s_wait_xcnt 0x0
	s_cselect_b32 s0, ttmp9, s21
	s_cmp_neq_f32 s18, 0
	v_mad_nc_u64_u32 v[0:1], s22, s0, v[0:1]
	s_cselect_b32 s1, -1, 0
	s_cmp_neq_f32 s20, 0
	v_cndmask_b32_e64 v2, 0, 1, s1
	s_delay_alu instid0(VALU_DEP_2)
	v_cmp_gt_u64_e64 s0, s[16:17], v[0:1]
	s_cselect_b32 s16, -1, 0
	s_lshl_b64 s[10:11], s[10:11], 2
	v_cndmask_b32_e64 v3, 0, 1, s16
	s_or_b32 s1, s1, s16
	s_lshl_b64 s[6:7], s[6:7], 2
	s_wait_kmcnt 0x0
	s_lshl_b64 s[14:15], s[14:15], 2
	s_branch .LBB41_5
.LBB41_2:                               ;   in Loop: Header=BB41_5 Depth=1
	s_delay_alu instid0(VALU_DEP_1)
	v_add_f32_e32 v4, v5, v4
.LBB41_3:                               ;   in Loop: Header=BB41_5 Depth=1
	s_load_b64 s[16:17], s[4:5], s2 offset:0x0 scale_offset
	s_wait_kmcnt 0x0
	s_add_nc_u64 s[16:17], s[16:17], s[6:7]
	s_delay_alu instid0(SALU_CYCLE_1)
	v_lshl_add_u64 v[6:7], v[0:1], 2, s[16:17]
	flat_store_b32 v[6:7], v4
.LBB41_4:                               ;   in Loop: Header=BB41_5 Depth=1
	s_wait_xcnt 0x0
	s_or_b32 exec_lo, exec_lo, s21
	s_add_co_i32 s2, s2, 0x10000
	s_delay_alu instid0(SALU_CYCLE_1)
	s_cmp_lt_u32 s2, s19
	s_cbranch_scc0 .LBB41_14
.LBB41_5:                               ; =>This Inner Loop Header: Depth=1
	s_and_saveexec_b32 s21, s0
	s_cbranch_execz .LBB41_4
; %bb.6:                                ;   in Loop: Header=BB41_5 Depth=1
	v_mov_b32_e32 v4, 0
	s_and_not1_b32 vcc_lo, exec_lo, s1
	s_cbranch_vccnz .LBB41_3
; %bb.7:                                ;   in Loop: Header=BB41_5 Depth=1
	v_cmp_ne_u32_e32 vcc_lo, 1, v2
	s_cbranch_vccnz .LBB41_9
; %bb.8:                                ;   in Loop: Header=BB41_5 Depth=1
	s_lshl_b64 s[16:17], s[2:3], 3
	s_delay_alu instid0(SALU_CYCLE_1)
	s_add_nc_u64 s[16:17], s[8:9], s[16:17]
	s_load_b64 s[16:17], s[16:17], 0x0
	s_wait_kmcnt 0x0
	s_wait_xcnt 0x0
	s_add_nc_u64 s[16:17], s[16:17], s[10:11]
	s_branch .LBB41_10
.LBB41_9:                               ;   in Loop: Header=BB41_5 Depth=1
	s_mov_b64 s[16:17], 0
.LBB41_10:                              ;   in Loop: Header=BB41_5 Depth=1
	v_cmp_ne_u32_e32 vcc_lo, 1, v3
	v_dual_mov_b32 v4, 0 :: v_dual_mov_b32 v5, 0
	s_cbranch_vccnz .LBB41_12
; %bb.11:                               ;   in Loop: Header=BB41_5 Depth=1
	s_lshl_b64 s[22:23], s[2:3], 3
	s_delay_alu instid0(SALU_CYCLE_1) | instskip(SKIP_4) | instid1(SALU_CYCLE_1)
	s_add_nc_u64 s[22:23], s[12:13], s[22:23]
	s_load_b64 s[22:23], s[22:23], 0x0
	s_wait_kmcnt 0x0
	s_wait_xcnt 0x0
	s_add_nc_u64 s[22:23], s[22:23], s[14:15]
	v_lshl_add_u64 v[6:7], v[0:1], 2, s[22:23]
	flat_load_b32 v5, v[6:7]
	s_wait_loadcnt_dscnt 0x0
	v_mul_f32_e32 v5, s20, v5
.LBB41_12:                              ;   in Loop: Header=BB41_5 Depth=1
	v_cmp_ne_u32_e32 vcc_lo, 1, v2
	s_cbranch_vccnz .LBB41_2
; %bb.13:                               ;   in Loop: Header=BB41_5 Depth=1
	s_wait_xcnt 0x0
	v_lshl_add_u64 v[6:7], v[0:1], 2, s[16:17]
	flat_load_b32 v4, v[6:7]
	s_wait_loadcnt_dscnt 0x0
	v_mul_f32_e32 v4, s18, v4
	s_branch .LBB41_2
.LBB41_14:
	s_endpgm
	.section	.rodata,"a",@progbits
	.p2align	6, 0x0
	.amdhsa_kernel _ZL22rocblas_geam_1D_deviceILi256EfPKPKfPKPfEvmT0_T1_llS7_S8_llT2_lli
		.amdhsa_group_segment_fixed_size 0
		.amdhsa_private_segment_fixed_size 0
		.amdhsa_kernarg_size 360
		.amdhsa_user_sgpr_count 2
		.amdhsa_user_sgpr_dispatch_ptr 0
		.amdhsa_user_sgpr_queue_ptr 0
		.amdhsa_user_sgpr_kernarg_segment_ptr 1
		.amdhsa_user_sgpr_dispatch_id 0
		.amdhsa_user_sgpr_kernarg_preload_length 0
		.amdhsa_user_sgpr_kernarg_preload_offset 0
		.amdhsa_user_sgpr_private_segment_size 0
		.amdhsa_wavefront_size32 1
		.amdhsa_uses_dynamic_stack 0
		.amdhsa_enable_private_segment 0
		.amdhsa_system_sgpr_workgroup_id_x 1
		.amdhsa_system_sgpr_workgroup_id_y 0
		.amdhsa_system_sgpr_workgroup_id_z 1
		.amdhsa_system_sgpr_workgroup_info 0
		.amdhsa_system_vgpr_workitem_id 0
		.amdhsa_next_free_vgpr 8
		.amdhsa_next_free_sgpr 24
		.amdhsa_named_barrier_count 0
		.amdhsa_reserve_vcc 1
		.amdhsa_float_round_mode_32 0
		.amdhsa_float_round_mode_16_64 0
		.amdhsa_float_denorm_mode_32 3
		.amdhsa_float_denorm_mode_16_64 3
		.amdhsa_fp16_overflow 0
		.amdhsa_memory_ordered 1
		.amdhsa_forward_progress 1
		.amdhsa_inst_pref_size 5
		.amdhsa_round_robin_scheduling 0
		.amdhsa_exception_fp_ieee_invalid_op 0
		.amdhsa_exception_fp_denorm_src 0
		.amdhsa_exception_fp_ieee_div_zero 0
		.amdhsa_exception_fp_ieee_overflow 0
		.amdhsa_exception_fp_ieee_underflow 0
		.amdhsa_exception_fp_ieee_inexact 0
		.amdhsa_exception_int_div_zero 0
	.end_amdhsa_kernel
	.section	.text._ZL22rocblas_geam_1D_deviceILi256EfPKPKfPKPfEvmT0_T1_llS7_S8_llT2_lli,"axG",@progbits,_ZL22rocblas_geam_1D_deviceILi256EfPKPKfPKPfEvmT0_T1_llS7_S8_llT2_lli,comdat
.Lfunc_end41:
	.size	_ZL22rocblas_geam_1D_deviceILi256EfPKPKfPKPfEvmT0_T1_llS7_S8_llT2_lli, .Lfunc_end41-_ZL22rocblas_geam_1D_deviceILi256EfPKPKfPKPfEvmT0_T1_llS7_S8_llT2_lli
                                        ; -- End function
	.set _ZL22rocblas_geam_1D_deviceILi256EfPKPKfPKPfEvmT0_T1_llS7_S8_llT2_lli.num_vgpr, 8
	.set _ZL22rocblas_geam_1D_deviceILi256EfPKPKfPKPfEvmT0_T1_llS7_S8_llT2_lli.num_agpr, 0
	.set _ZL22rocblas_geam_1D_deviceILi256EfPKPKfPKPfEvmT0_T1_llS7_S8_llT2_lli.numbered_sgpr, 24
	.set _ZL22rocblas_geam_1D_deviceILi256EfPKPKfPKPfEvmT0_T1_llS7_S8_llT2_lli.num_named_barrier, 0
	.set _ZL22rocblas_geam_1D_deviceILi256EfPKPKfPKPfEvmT0_T1_llS7_S8_llT2_lli.private_seg_size, 0
	.set _ZL22rocblas_geam_1D_deviceILi256EfPKPKfPKPfEvmT0_T1_llS7_S8_llT2_lli.uses_vcc, 1
	.set _ZL22rocblas_geam_1D_deviceILi256EfPKPKfPKPfEvmT0_T1_llS7_S8_llT2_lli.uses_flat_scratch, 0
	.set _ZL22rocblas_geam_1D_deviceILi256EfPKPKfPKPfEvmT0_T1_llS7_S8_llT2_lli.has_dyn_sized_stack, 0
	.set _ZL22rocblas_geam_1D_deviceILi256EfPKPKfPKPfEvmT0_T1_llS7_S8_llT2_lli.has_recursion, 0
	.set _ZL22rocblas_geam_1D_deviceILi256EfPKPKfPKPfEvmT0_T1_llS7_S8_llT2_lli.has_indirect_call, 0
	.section	.AMDGPU.csdata,"",@progbits
; Kernel info:
; codeLenInByte = 516
; TotalNumSgprs: 26
; NumVgprs: 8
; ScratchSize: 0
; MemoryBound: 0
; FloatMode: 240
; IeeeMode: 1
; LDSByteSize: 0 bytes/workgroup (compile time only)
; SGPRBlocks: 0
; VGPRBlocks: 0
; NumSGPRsForWavesPerEU: 26
; NumVGPRsForWavesPerEU: 8
; NamedBarCnt: 0
; Occupancy: 16
; WaveLimiterHint : 1
; COMPUTE_PGM_RSRC2:SCRATCH_EN: 0
; COMPUTE_PGM_RSRC2:USER_SGPR: 2
; COMPUTE_PGM_RSRC2:TRAP_HANDLER: 0
; COMPUTE_PGM_RSRC2:TGID_X_EN: 1
; COMPUTE_PGM_RSRC2:TGID_Y_EN: 0
; COMPUTE_PGM_RSRC2:TGID_Z_EN: 1
; COMPUTE_PGM_RSRC2:TIDIG_COMP_CNT: 0
	.section	.text._ZL22rocblas_geam_1D_deviceILi256EPKfPKS1_PKPfEvmT0_T1_llS7_S8_llT2_lli,"axG",@progbits,_ZL22rocblas_geam_1D_deviceILi256EPKfPKS1_PKPfEvmT0_T1_llS7_S8_llT2_lli,comdat
	.globl	_ZL22rocblas_geam_1D_deviceILi256EPKfPKS1_PKPfEvmT0_T1_llS7_S8_llT2_lli ; -- Begin function _ZL22rocblas_geam_1D_deviceILi256EPKfPKS1_PKPfEvmT0_T1_llS7_S8_llT2_lli
	.p2align	8
	.type	_ZL22rocblas_geam_1D_deviceILi256EPKfPKS1_PKPfEvmT0_T1_llS7_S8_llT2_lli,@function
_ZL22rocblas_geam_1D_deviceILi256EPKfPKS1_PKPfEvmT0_T1_llS7_S8_llT2_lli: ; @_ZL22rocblas_geam_1D_deviceILi256EPKfPKS1_PKPfEvmT0_T1_llS7_S8_llT2_lli
; %bb.0:
	s_load_b32 s22, s[0:1], 0x60
	s_bfe_u32 s2, ttmp6, 0x40014
	s_lshr_b32 s3, ttmp7, 16
	s_add_co_i32 s2, s2, 1
	s_bfe_u32 s5, ttmp6, 0x40008
	s_mul_i32 s4, s3, s2
	s_getreg_b32 s2, hwreg(HW_REG_IB_STS2, 6, 4)
	s_add_co_i32 s5, s5, s4
	s_cmp_eq_u32 s2, 0
	s_mov_b32 s21, 0
	s_cselect_b32 s20, s3, s5
	s_wait_kmcnt 0x0
	s_cmp_ge_u32 s20, s22
	s_cbranch_scc1 .LBB42_14
; %bb.1:
	s_clause 0x3
	s_load_b32 s3, s[0:1], 0x74
	s_load_b128 s[12:15], s[0:1], 0x48
	s_load_b256 s[4:11], s[0:1], 0x0
	s_load_b64 s[24:25], s[0:1], 0x38
	s_bfe_u32 s16, ttmp6, 0x4000c
	s_and_b32 s17, ttmp6, 15
	s_add_co_i32 s16, s16, 1
	v_mov_b32_e32 v1, 0
	s_mul_i32 s16, ttmp9, s16
	s_delay_alu instid0(SALU_CYCLE_1)
	s_add_co_i32 s23, s17, s16
	s_load_b128 s[16:19], s[0:1], 0x28
	s_wait_kmcnt 0x0
	s_and_b32 s3, s3, 0xffff
	s_cmp_eq_u32 s2, 0
	s_cselect_b32 s0, ttmp9, s23
	s_lshl_b64 s[14:15], s[14:15], 2
	v_mad_nc_u64_u32 v[2:3], s3, s0, v[0:1]
	s_delay_alu instid0(VALU_DEP_1)
	v_cmp_gt_u64_e64 s0, s[4:5], v[2:3]
	s_lshl_b64 s[4:5], s[10:11], 2
	s_lshl_b64 s[10:11], s[24:25], 2
	s_branch .LBB42_6
.LBB42_2:                               ;   in Loop: Header=BB42_6 Depth=1
	s_wait_xcnt 0x0
	v_lshl_add_u64 v[6:7], v[2:3], 2, s[2:3]
	flat_load_b32 v5, v[6:7]
	s_wait_loadcnt_dscnt 0x0
	v_mul_f32_e32 v0, v0, v5
.LBB42_3:                               ;   in Loop: Header=BB42_6 Depth=1
	s_delay_alu instid0(VALU_DEP_1)
	v_add_f32_e32 v5, v4, v0
.LBB42_4:                               ;   in Loop: Header=BB42_6 Depth=1
	s_load_b64 s[2:3], s[12:13], s20 offset:0x0 scale_offset
	s_wait_kmcnt 0x0
	s_add_nc_u64 s[2:3], s[2:3], s[14:15]
	s_delay_alu instid0(SALU_CYCLE_1)
	v_lshl_add_u64 v[6:7], v[2:3], 2, s[2:3]
	flat_store_b32 v[6:7], v5
.LBB42_5:                               ;   in Loop: Header=BB42_6 Depth=1
	s_wait_xcnt 0x0
	s_or_b32 exec_lo, exec_lo, s23
	s_add_co_i32 s20, s20, 0x10000
	s_delay_alu instid0(SALU_CYCLE_1)
	s_cmp_lt_u32 s20, s22
	s_cbranch_scc0 .LBB42_14
.LBB42_6:                               ; =>This Inner Loop Header: Depth=1
	s_and_saveexec_b32 s23, s0
	s_cbranch_execz .LBB42_5
; %bb.7:                                ;   in Loop: Header=BB42_6 Depth=1
	s_clause 0x1
	global_load_b32 v0, v1, s[6:7]
	global_load_b32 v4, v1, s[16:17]
	v_mov_b32_e32 v5, 0
	s_wait_loadcnt 0x1
	v_cmp_eq_f32_e64 s2, 0, v0
	s_wait_loadcnt 0x0
	v_cmp_eq_f32_e32 vcc_lo, 0, v4
	s_and_b32 s1, s2, vcc_lo
	s_delay_alu instid0(SALU_CYCLE_1)
	s_and_b32 vcc_lo, exec_lo, s1
	s_cbranch_vccnz .LBB42_4
; %bb.8:                                ;   in Loop: Header=BB42_6 Depth=1
	v_cmp_neq_f32_e64 s1, 0, v0
	s_and_b32 vcc_lo, exec_lo, s2
	s_cbranch_vccnz .LBB42_11
; %bb.9:                                ;   in Loop: Header=BB42_6 Depth=1
	s_lshl_b64 s[2:3], s[20:21], 3
	s_delay_alu instid0(SALU_CYCLE_1)
	s_add_nc_u64 s[2:3], s[8:9], s[2:3]
	s_load_b64 s[2:3], s[2:3], 0x0
	s_wait_kmcnt 0x0
	s_wait_xcnt 0x0
	s_add_nc_u64 s[2:3], s[2:3], s[4:5]
	v_cmp_eq_f32_e32 vcc_lo, 0, v4
	s_cbranch_vccnz .LBB42_12
.LBB42_10:                              ;   in Loop: Header=BB42_6 Depth=1
	s_lshl_b64 s[24:25], s[20:21], 3
	s_delay_alu instid0(SALU_CYCLE_1) | instskip(SKIP_4) | instid1(SALU_CYCLE_1)
	s_add_nc_u64 s[24:25], s[18:19], s[24:25]
	s_load_b64 s[24:25], s[24:25], 0x0
	s_wait_kmcnt 0x0
	s_wait_xcnt 0x0
	s_add_nc_u64 s[24:25], s[24:25], s[10:11]
	v_lshl_add_u64 v[6:7], v[2:3], 2, s[24:25]
	flat_load_b32 v5, v[6:7]
	s_wait_loadcnt_dscnt 0x0
	v_mul_f32_e32 v4, v4, v5
	s_and_not1_b32 vcc_lo, exec_lo, s1
	s_cbranch_vccz .LBB42_2
	s_branch .LBB42_13
.LBB42_11:                              ;   in Loop: Header=BB42_6 Depth=1
	s_mov_b64 s[2:3], 0
	v_cmp_eq_f32_e32 vcc_lo, 0, v4
	s_cbranch_vccz .LBB42_10
.LBB42_12:                              ;   in Loop: Header=BB42_6 Depth=1
	v_mov_b32_e32 v4, 0
	s_and_not1_b32 vcc_lo, exec_lo, s1
	s_cbranch_vccz .LBB42_2
.LBB42_13:                              ;   in Loop: Header=BB42_6 Depth=1
	v_mov_b32_e32 v0, 0
	s_branch .LBB42_3
.LBB42_14:
	s_endpgm
	.section	.rodata,"a",@progbits
	.p2align	6, 0x0
	.amdhsa_kernel _ZL22rocblas_geam_1D_deviceILi256EPKfPKS1_PKPfEvmT0_T1_llS7_S8_llT2_lli
		.amdhsa_group_segment_fixed_size 0
		.amdhsa_private_segment_fixed_size 0
		.amdhsa_kernarg_size 360
		.amdhsa_user_sgpr_count 2
		.amdhsa_user_sgpr_dispatch_ptr 0
		.amdhsa_user_sgpr_queue_ptr 0
		.amdhsa_user_sgpr_kernarg_segment_ptr 1
		.amdhsa_user_sgpr_dispatch_id 0
		.amdhsa_user_sgpr_kernarg_preload_length 0
		.amdhsa_user_sgpr_kernarg_preload_offset 0
		.amdhsa_user_sgpr_private_segment_size 0
		.amdhsa_wavefront_size32 1
		.amdhsa_uses_dynamic_stack 0
		.amdhsa_enable_private_segment 0
		.amdhsa_system_sgpr_workgroup_id_x 1
		.amdhsa_system_sgpr_workgroup_id_y 0
		.amdhsa_system_sgpr_workgroup_id_z 1
		.amdhsa_system_sgpr_workgroup_info 0
		.amdhsa_system_vgpr_workitem_id 0
		.amdhsa_next_free_vgpr 8
		.amdhsa_next_free_sgpr 26
		.amdhsa_named_barrier_count 0
		.amdhsa_reserve_vcc 1
		.amdhsa_float_round_mode_32 0
		.amdhsa_float_round_mode_16_64 0
		.amdhsa_float_denorm_mode_32 3
		.amdhsa_float_denorm_mode_16_64 3
		.amdhsa_fp16_overflow 0
		.amdhsa_memory_ordered 1
		.amdhsa_forward_progress 1
		.amdhsa_inst_pref_size 5
		.amdhsa_round_robin_scheduling 0
		.amdhsa_exception_fp_ieee_invalid_op 0
		.amdhsa_exception_fp_denorm_src 0
		.amdhsa_exception_fp_ieee_div_zero 0
		.amdhsa_exception_fp_ieee_overflow 0
		.amdhsa_exception_fp_ieee_underflow 0
		.amdhsa_exception_fp_ieee_inexact 0
		.amdhsa_exception_int_div_zero 0
	.end_amdhsa_kernel
	.section	.text._ZL22rocblas_geam_1D_deviceILi256EPKfPKS1_PKPfEvmT0_T1_llS7_S8_llT2_lli,"axG",@progbits,_ZL22rocblas_geam_1D_deviceILi256EPKfPKS1_PKPfEvmT0_T1_llS7_S8_llT2_lli,comdat
.Lfunc_end42:
	.size	_ZL22rocblas_geam_1D_deviceILi256EPKfPKS1_PKPfEvmT0_T1_llS7_S8_llT2_lli, .Lfunc_end42-_ZL22rocblas_geam_1D_deviceILi256EPKfPKS1_PKPfEvmT0_T1_llS7_S8_llT2_lli
                                        ; -- End function
	.set _ZL22rocblas_geam_1D_deviceILi256EPKfPKS1_PKPfEvmT0_T1_llS7_S8_llT2_lli.num_vgpr, 8
	.set _ZL22rocblas_geam_1D_deviceILi256EPKfPKS1_PKPfEvmT0_T1_llS7_S8_llT2_lli.num_agpr, 0
	.set _ZL22rocblas_geam_1D_deviceILi256EPKfPKS1_PKPfEvmT0_T1_llS7_S8_llT2_lli.numbered_sgpr, 26
	.set _ZL22rocblas_geam_1D_deviceILi256EPKfPKS1_PKPfEvmT0_T1_llS7_S8_llT2_lli.num_named_barrier, 0
	.set _ZL22rocblas_geam_1D_deviceILi256EPKfPKS1_PKPfEvmT0_T1_llS7_S8_llT2_lli.private_seg_size, 0
	.set _ZL22rocblas_geam_1D_deviceILi256EPKfPKS1_PKPfEvmT0_T1_llS7_S8_llT2_lli.uses_vcc, 1
	.set _ZL22rocblas_geam_1D_deviceILi256EPKfPKS1_PKPfEvmT0_T1_llS7_S8_llT2_lli.uses_flat_scratch, 0
	.set _ZL22rocblas_geam_1D_deviceILi256EPKfPKS1_PKPfEvmT0_T1_llS7_S8_llT2_lli.has_dyn_sized_stack, 0
	.set _ZL22rocblas_geam_1D_deviceILi256EPKfPKS1_PKPfEvmT0_T1_llS7_S8_llT2_lli.has_recursion, 0
	.set _ZL22rocblas_geam_1D_deviceILi256EPKfPKS1_PKPfEvmT0_T1_llS7_S8_llT2_lli.has_indirect_call, 0
	.section	.AMDGPU.csdata,"",@progbits
; Kernel info:
; codeLenInByte = 548
; TotalNumSgprs: 28
; NumVgprs: 8
; ScratchSize: 0
; MemoryBound: 0
; FloatMode: 240
; IeeeMode: 1
; LDSByteSize: 0 bytes/workgroup (compile time only)
; SGPRBlocks: 0
; VGPRBlocks: 0
; NumSGPRsForWavesPerEU: 28
; NumVGPRsForWavesPerEU: 8
; NamedBarCnt: 0
; Occupancy: 16
; WaveLimiterHint : 1
; COMPUTE_PGM_RSRC2:SCRATCH_EN: 0
; COMPUTE_PGM_RSRC2:USER_SGPR: 2
; COMPUTE_PGM_RSRC2:TRAP_HANDLER: 0
; COMPUTE_PGM_RSRC2:TGID_X_EN: 1
; COMPUTE_PGM_RSRC2:TGID_Y_EN: 0
; COMPUTE_PGM_RSRC2:TGID_Z_EN: 1
; COMPUTE_PGM_RSRC2:TIDIG_COMP_CNT: 0
	.section	.text._ZL19rocblas_geam_deviceILi16ELi16EfPKPKfPKPfEv18rocblas_operation_S7_iiT1_T2_lllS8_S9_lllT3_llli,"axG",@progbits,_ZL19rocblas_geam_deviceILi16ELi16EfPKPKfPKPfEv18rocblas_operation_S7_iiT1_T2_lllS8_S9_lllT3_llli,comdat
	.globl	_ZL19rocblas_geam_deviceILi16ELi16EfPKPKfPKPfEv18rocblas_operation_S7_iiT1_T2_lllS8_S9_lllT3_llli ; -- Begin function _ZL19rocblas_geam_deviceILi16ELi16EfPKPKfPKPfEv18rocblas_operation_S7_iiT1_T2_lllS8_S9_lllT3_llli
	.p2align	8
	.type	_ZL19rocblas_geam_deviceILi16ELi16EfPKPKfPKPfEv18rocblas_operation_S7_iiT1_T2_lllS8_S9_lllT3_llli,@function
_ZL19rocblas_geam_deviceILi16ELi16EfPKPKfPKPfEv18rocblas_operation_S7_iiT1_T2_lllS8_S9_lllT3_llli: ; @_ZL19rocblas_geam_deviceILi16ELi16EfPKPKfPKPfEv18rocblas_operation_S7_iiT1_T2_lllS8_S9_lllT3_llli
; %bb.0:
	s_load_b32 s24, s[0:1], 0x80
	s_bfe_u32 s2, ttmp6, 0x40014
	s_lshr_b32 s3, ttmp7, 16
	s_add_co_i32 s2, s2, 1
	s_bfe_u32 s5, ttmp6, 0x40008
	s_mul_i32 s4, s3, s2
	s_getreg_b32 s2, hwreg(HW_REG_IB_STS2, 6, 4)
	s_add_co_i32 s5, s5, s4
	s_cmp_eq_u32 s2, 0
	s_mov_b32 s21, 0
	s_cselect_b32 s20, s3, s5
	s_wait_kmcnt 0x0
	s_cmp_ge_u32 s20, s24
	s_cbranch_scc1 .LBB43_15
; %bb.1:
	s_clause 0x1
	s_load_b128 s[12:15], s[0:1], 0x0
	s_load_b32 s22, s[0:1], 0x10
	s_bfe_u32 s7, ttmp6, 0x4000c
	s_and_b32 s6, ttmp6, 15
	s_add_co_i32 s7, s7, 1
	s_clause 0x2
	s_load_b64 s[26:27], s[0:1], 0x28
	s_load_b64 s[28:29], s[0:1], 0x50
	;; [unrolled: 1-line block ×3, first 2 shown]
	s_mul_i32 s7, ttmp9, s7
	s_delay_alu instid0(SALU_CYCLE_1) | instskip(SKIP_2) | instid1(SALU_CYCLE_1)
	s_add_co_i32 s6, s6, s7
	s_wait_kmcnt 0x0
	s_add_co_i32 s3, s14, -1
	s_ashr_i32 s4, s3, 31
	s_delay_alu instid0(SALU_CYCLE_1) | instskip(NEXT) | instid1(SALU_CYCLE_1)
	s_lshr_b32 s4, s4, 28
	s_add_co_i32 s3, s3, s4
	s_delay_alu instid0(SALU_CYCLE_1) | instskip(NEXT) | instid1(SALU_CYCLE_1)
	s_ashr_i32 s3, s3, 4
	s_add_co_i32 s4, s3, 1
	s_not_b32 s3, s3
	s_cvt_f32_u32 s5, s4
	s_delay_alu instid0(SALU_CYCLE_3) | instskip(SKIP_1) | instid1(TRANS32_DEP_1)
	v_rcp_iflag_f32_e32 v1, s5
	v_nop
	v_readfirstlane_b32 s5, v1
	v_bfe_u32 v1, v0, 10, 10
	v_and_b32_e32 v0, 0x3ff, v0
	s_mul_f32 s5, s5, 0x4f7ffffe
	s_delay_alu instid0(SALU_CYCLE_3) | instskip(NEXT) | instid1(SALU_CYCLE_3)
	s_cvt_u32_f32 s5, s5
	s_mul_i32 s3, s3, s5
	s_delay_alu instid0(SALU_CYCLE_1) | instskip(NEXT) | instid1(SALU_CYCLE_1)
	s_mul_hi_u32 s3, s5, s3
	s_add_co_i32 s5, s5, s3
	s_cmp_eq_u32 s2, 0
	s_cselect_b32 s2, ttmp9, s6
	s_delay_alu instid0(SALU_CYCLE_1) | instskip(NEXT) | instid1(SALU_CYCLE_1)
	s_mul_hi_u32 s3, s2, s5
	s_mul_i32 s5, s3, s4
	s_add_co_i32 s6, s3, 1
	s_sub_co_i32 s5, s2, s5
	s_delay_alu instid0(SALU_CYCLE_1)
	s_sub_co_i32 s7, s5, s4
	s_cmp_ge_u32 s5, s4
	s_cselect_b32 s3, s6, s3
	s_cselect_b32 s5, s7, s5
	s_add_co_i32 s6, s3, 1
	s_cmp_ge_u32 s5, s4
	s_cselect_b32 s3, s6, s3
	s_delay_alu instid0(SALU_CYCLE_1)
	s_mul_i32 s4, s3, s4
	v_lshl_add_u32 v4, s3, 4, v1
	s_sub_co_i32 s2, s2, s4
	s_clause 0x1
	s_load_b32 s23, s[0:1], 0x38
	s_load_b128 s[4:7], s[0:1], 0x60
	v_lshl_add_u32 v0, s2, 4, v0
	v_ashrrev_i32_e32 v5, 31, v4
	v_cmp_gt_i32_e32 vcc_lo, s15, v4
	s_delay_alu instid0(VALU_DEP_3) | instskip(SKIP_1) | instid1(VALU_DEP_4)
	v_ashrrev_i32_e32 v1, 31, v0
	v_cmp_gt_i32_e64 s2, s14, v0
	v_mad_nc_u64_u32 v[6:7], s28, v0, v[4:5]
	v_mad_nc_u64_u32 v[10:11], s26, v0, v[4:5]
	v_mul_u64_e32 v[2:3], s[8:9], v[4:5]
	v_mad_nc_u64_u32 v[8:9], s28, v4, v[0:1]
	v_mad_nc_u64_u32 v[12:13], s26, v4, v[0:1]
	s_and_b32 s14, s2, vcc_lo
	s_cmp_neq_f32 s22, 0
	s_clause 0x1
	s_load_b128 s[8:11], s[0:1], 0x18
	s_load_b128 s[16:19], s[0:1], 0x40
	s_cselect_b32 s15, -1, 0
	v_mad_u32 v7, s29, v0, v7
	v_mad_u32 v11, s27, v0, v11
	s_cmp_eq_f32 s22, 0
	v_mad_u32 v9, s29, v4, v9
	v_mad_u32 v4, s27, v4, v13
	s_cselect_b32 s25, -1, 0
	s_wait_kmcnt 0x0
	s_cmp_neq_f32 s23, 0
	s_delay_alu instid0(VALU_DEP_4) | instskip(NEXT) | instid1(VALU_DEP_4)
	v_mad_u32 v7, s28, v1, v7
	v_mad_u32 v11, s26, v1, v11
	s_delay_alu instid0(VALU_DEP_4) | instskip(NEXT) | instid1(VALU_DEP_4)
	v_mad_u32 v9, s28, v5, v9
	v_mad_u32 v13, s26, v5, v4
	s_cselect_b32 s26, -1, 0
	s_cmp_eq_u32 s12, 0x6f
	s_cselect_b32 vcc_lo, -1, 0
	s_cmp_eq_u32 s13, 0x6f
	s_cselect_b32 s0, -1, 0
	s_lshl_b64 s[2:3], s[18:19], 2
	s_delay_alu instid0(VALU_DEP_2) | instskip(NEXT) | instid1(VALU_DEP_2)
	v_dual_cndmask_b32 v4, v6, v8, s0 :: v_dual_cndmask_b32 v5, v7, v9, s0
	v_dual_cndmask_b32 v7, v11, v13 :: v_dual_cndmask_b32 v6, v10, v12
	s_lshl_b64 s[0:1], s[10:11], 2
	s_lshl_b64 s[6:7], s[6:7], 2
	s_branch .LBB43_4
.LBB43_2:                               ;   in Loop: Header=BB43_4 Depth=1
	s_lshl_b64 s[10:11], s[20:21], 3
	s_wait_xcnt 0x0
	v_mov_b64_e32 v[10:11], s[22:23]
	s_add_nc_u64 s[10:11], s[4:5], s[10:11]
	s_load_b64 s[10:11], s[10:11], 0x0
	s_wait_loadcnt_dscnt 0x0
	s_delay_alu instid0(VALU_DEP_1) | instskip(NEXT) | instid1(VALU_DEP_1)
	v_pk_mul_f32 v[8:9], v[10:11], v[8:9]
	v_add_f32_e32 v12, v8, v9
	s_wait_kmcnt 0x0
	s_wait_xcnt 0x0
	s_add_nc_u64 s[10:11], s[10:11], s[6:7]
	s_delay_alu instid0(SALU_CYCLE_1) | instskip(NEXT) | instid1(VALU_DEP_1)
	v_lshl_add_u64 v[10:11], v[2:3], 2, s[10:11]
	v_lshl_add_u64 v[8:9], v[0:1], 2, v[10:11]
	flat_store_b32 v[8:9], v12
.LBB43_3:                               ;   in Loop: Header=BB43_4 Depth=1
	s_wait_xcnt 0x0
	s_or_b32 exec_lo, exec_lo, s18
	s_add_co_i32 s20, s20, 0x10000
	s_delay_alu instid0(SALU_CYCLE_1)
	s_cmp_lt_u32 s20, s24
	s_cbranch_scc0 .LBB43_15
.LBB43_4:                               ; =>This Inner Loop Header: Depth=1
	s_and_saveexec_b32 s18, s14
	s_cbranch_execz .LBB43_3
; %bb.5:                                ;   in Loop: Header=BB43_4 Depth=1
	s_and_not1_b32 vcc_lo, exec_lo, s25
	s_cbranch_vccnz .LBB43_7
; %bb.6:                                ;   in Loop: Header=BB43_4 Depth=1
	s_mov_b64 s[10:11], 0
	s_mov_b64 s[12:13], 0
	s_cbranch_execz .LBB43_8
	s_branch .LBB43_9
.LBB43_7:                               ;   in Loop: Header=BB43_4 Depth=1
	s_mov_b64 s[10:11], 0
	s_mov_b64 s[12:13], 0
.LBB43_8:                               ;   in Loop: Header=BB43_4 Depth=1
	s_lshl_b64 s[12:13], s[20:21], 3
	s_delay_alu instid0(SALU_CYCLE_1)
	s_add_nc_u64 s[12:13], s[8:9], s[12:13]
	s_load_b64 s[12:13], s[12:13], 0x0
	s_wait_kmcnt 0x0
	s_wait_xcnt 0x0
	s_add_nc_u64 s[12:13], s[12:13], s[0:1]
.LBB43_9:                               ;   in Loop: Header=BB43_4 Depth=1
	s_and_not1_b32 vcc_lo, exec_lo, s26
	s_cbranch_vccnz .LBB43_11
; %bb.10:                               ;   in Loop: Header=BB43_4 Depth=1
	s_lshl_b64 s[10:11], s[20:21], 3
	s_delay_alu instid0(SALU_CYCLE_1)
	s_add_nc_u64 s[10:11], s[16:17], s[10:11]
	s_load_b64 s[10:11], s[10:11], 0x0
	s_wait_kmcnt 0x0
	s_wait_xcnt 0x0
	s_add_nc_u64 s[10:11], s[10:11], s[2:3]
.LBB43_11:                              ;   in Loop: Header=BB43_4 Depth=1
	v_dual_mov_b32 v9, 0 :: v_dual_mov_b32 v8, 0
	s_and_not1_b32 vcc_lo, exec_lo, s15
	s_cbranch_vccnz .LBB43_13
; %bb.12:                               ;   in Loop: Header=BB43_4 Depth=1
	v_lshl_add_u64 v[10:11], v[6:7], 2, s[12:13]
	flat_load_b32 v8, v[10:11]
.LBB43_13:                              ;   in Loop: Header=BB43_4 Depth=1
	s_and_not1_b32 vcc_lo, exec_lo, s26
	s_cbranch_vccnz .LBB43_2
; %bb.14:                               ;   in Loop: Header=BB43_4 Depth=1
	s_wait_xcnt 0x0
	v_lshl_add_u64 v[10:11], v[4:5], 2, s[10:11]
	flat_load_b32 v9, v[10:11]
	s_branch .LBB43_2
.LBB43_15:
	s_endpgm
	.section	.rodata,"a",@progbits
	.p2align	6, 0x0
	.amdhsa_kernel _ZL19rocblas_geam_deviceILi16ELi16EfPKPKfPKPfEv18rocblas_operation_S7_iiT1_T2_lllS8_S9_lllT3_llli
		.amdhsa_group_segment_fixed_size 0
		.amdhsa_private_segment_fixed_size 0
		.amdhsa_kernarg_size 132
		.amdhsa_user_sgpr_count 2
		.amdhsa_user_sgpr_dispatch_ptr 0
		.amdhsa_user_sgpr_queue_ptr 0
		.amdhsa_user_sgpr_kernarg_segment_ptr 1
		.amdhsa_user_sgpr_dispatch_id 0
		.amdhsa_user_sgpr_kernarg_preload_length 0
		.amdhsa_user_sgpr_kernarg_preload_offset 0
		.amdhsa_user_sgpr_private_segment_size 0
		.amdhsa_wavefront_size32 1
		.amdhsa_uses_dynamic_stack 0
		.amdhsa_enable_private_segment 0
		.amdhsa_system_sgpr_workgroup_id_x 1
		.amdhsa_system_sgpr_workgroup_id_y 0
		.amdhsa_system_sgpr_workgroup_id_z 1
		.amdhsa_system_sgpr_workgroup_info 0
		.amdhsa_system_vgpr_workitem_id 1
		.amdhsa_next_free_vgpr 14
		.amdhsa_next_free_sgpr 30
		.amdhsa_named_barrier_count 0
		.amdhsa_reserve_vcc 1
		.amdhsa_float_round_mode_32 0
		.amdhsa_float_round_mode_16_64 0
		.amdhsa_float_denorm_mode_32 3
		.amdhsa_float_denorm_mode_16_64 3
		.amdhsa_fp16_overflow 0
		.amdhsa_memory_ordered 1
		.amdhsa_forward_progress 1
		.amdhsa_inst_pref_size 8
		.amdhsa_round_robin_scheduling 0
		.amdhsa_exception_fp_ieee_invalid_op 0
		.amdhsa_exception_fp_denorm_src 0
		.amdhsa_exception_fp_ieee_div_zero 0
		.amdhsa_exception_fp_ieee_overflow 0
		.amdhsa_exception_fp_ieee_underflow 0
		.amdhsa_exception_fp_ieee_inexact 0
		.amdhsa_exception_int_div_zero 0
	.end_amdhsa_kernel
	.section	.text._ZL19rocblas_geam_deviceILi16ELi16EfPKPKfPKPfEv18rocblas_operation_S7_iiT1_T2_lllS8_S9_lllT3_llli,"axG",@progbits,_ZL19rocblas_geam_deviceILi16ELi16EfPKPKfPKPfEv18rocblas_operation_S7_iiT1_T2_lllS8_S9_lllT3_llli,comdat
.Lfunc_end43:
	.size	_ZL19rocblas_geam_deviceILi16ELi16EfPKPKfPKPfEv18rocblas_operation_S7_iiT1_T2_lllS8_S9_lllT3_llli, .Lfunc_end43-_ZL19rocblas_geam_deviceILi16ELi16EfPKPKfPKPfEv18rocblas_operation_S7_iiT1_T2_lllS8_S9_lllT3_llli
                                        ; -- End function
	.set _ZL19rocblas_geam_deviceILi16ELi16EfPKPKfPKPfEv18rocblas_operation_S7_iiT1_T2_lllS8_S9_lllT3_llli.num_vgpr, 14
	.set _ZL19rocblas_geam_deviceILi16ELi16EfPKPKfPKPfEv18rocblas_operation_S7_iiT1_T2_lllS8_S9_lllT3_llli.num_agpr, 0
	.set _ZL19rocblas_geam_deviceILi16ELi16EfPKPKfPKPfEv18rocblas_operation_S7_iiT1_T2_lllS8_S9_lllT3_llli.numbered_sgpr, 30
	.set _ZL19rocblas_geam_deviceILi16ELi16EfPKPKfPKPfEv18rocblas_operation_S7_iiT1_T2_lllS8_S9_lllT3_llli.num_named_barrier, 0
	.set _ZL19rocblas_geam_deviceILi16ELi16EfPKPKfPKPfEv18rocblas_operation_S7_iiT1_T2_lllS8_S9_lllT3_llli.private_seg_size, 0
	.set _ZL19rocblas_geam_deviceILi16ELi16EfPKPKfPKPfEv18rocblas_operation_S7_iiT1_T2_lllS8_S9_lllT3_llli.uses_vcc, 1
	.set _ZL19rocblas_geam_deviceILi16ELi16EfPKPKfPKPfEv18rocblas_operation_S7_iiT1_T2_lllS8_S9_lllT3_llli.uses_flat_scratch, 0
	.set _ZL19rocblas_geam_deviceILi16ELi16EfPKPKfPKPfEv18rocblas_operation_S7_iiT1_T2_lllS8_S9_lllT3_llli.has_dyn_sized_stack, 0
	.set _ZL19rocblas_geam_deviceILi16ELi16EfPKPKfPKPfEv18rocblas_operation_S7_iiT1_T2_lllS8_S9_lllT3_llli.has_recursion, 0
	.set _ZL19rocblas_geam_deviceILi16ELi16EfPKPKfPKPfEv18rocblas_operation_S7_iiT1_T2_lllS8_S9_lllT3_llli.has_indirect_call, 0
	.section	.AMDGPU.csdata,"",@progbits
; Kernel info:
; codeLenInByte = 912
; TotalNumSgprs: 32
; NumVgprs: 14
; ScratchSize: 0
; MemoryBound: 0
; FloatMode: 240
; IeeeMode: 1
; LDSByteSize: 0 bytes/workgroup (compile time only)
; SGPRBlocks: 0
; VGPRBlocks: 0
; NumSGPRsForWavesPerEU: 32
; NumVGPRsForWavesPerEU: 14
; NamedBarCnt: 0
; Occupancy: 16
; WaveLimiterHint : 1
; COMPUTE_PGM_RSRC2:SCRATCH_EN: 0
; COMPUTE_PGM_RSRC2:USER_SGPR: 2
; COMPUTE_PGM_RSRC2:TRAP_HANDLER: 0
; COMPUTE_PGM_RSRC2:TGID_X_EN: 1
; COMPUTE_PGM_RSRC2:TGID_Y_EN: 0
; COMPUTE_PGM_RSRC2:TGID_Z_EN: 1
; COMPUTE_PGM_RSRC2:TIDIG_COMP_CNT: 1
	.section	.text._ZL19rocblas_geam_deviceILi16ELi16EPKfPKS1_PKPfEv18rocblas_operation_S7_iiT1_T2_lllS8_S9_lllT3_llli,"axG",@progbits,_ZL19rocblas_geam_deviceILi16ELi16EPKfPKS1_PKPfEv18rocblas_operation_S7_iiT1_T2_lllS8_S9_lllT3_llli,comdat
	.globl	_ZL19rocblas_geam_deviceILi16ELi16EPKfPKS1_PKPfEv18rocblas_operation_S7_iiT1_T2_lllS8_S9_lllT3_llli ; -- Begin function _ZL19rocblas_geam_deviceILi16ELi16EPKfPKS1_PKPfEv18rocblas_operation_S7_iiT1_T2_lllS8_S9_lllT3_llli
	.p2align	8
	.type	_ZL19rocblas_geam_deviceILi16ELi16EPKfPKS1_PKPfEv18rocblas_operation_S7_iiT1_T2_lllS8_S9_lllT3_llli,@function
_ZL19rocblas_geam_deviceILi16ELi16EPKfPKS1_PKPfEv18rocblas_operation_S7_iiT1_T2_lllS8_S9_lllT3_llli: ; @_ZL19rocblas_geam_deviceILi16ELi16EPKfPKS1_PKPfEv18rocblas_operation_S7_iiT1_T2_lllS8_S9_lllT3_llli
; %bb.0:
	s_load_b32 s28, s[0:1], 0x80
	s_bfe_u32 s2, ttmp6, 0x40014
	s_lshr_b32 s3, ttmp7, 16
	s_add_co_i32 s2, s2, 1
	s_bfe_u32 s5, ttmp6, 0x40008
	s_mul_i32 s2, s3, s2
	s_getreg_b32 s4, hwreg(HW_REG_IB_STS2, 6, 4)
	s_add_co_i32 s5, s5, s2
	s_cmp_eq_u32 s4, 0
	s_cselect_b32 s2, s3, s5
	s_mov_b32 s3, 0
	s_wait_kmcnt 0x0
	s_cmp_ge_u32 s2, s28
	s_cbranch_scc1 .LBB44_15
; %bb.1:
	s_load_b128 s[24:27], s[0:1], 0x0
	s_bfe_u32 s8, ttmp6, 0x4000c
	s_and_b32 s7, ttmp6, 15
	s_add_co_i32 s8, s8, 1
	s_delay_alu instid0(SALU_CYCLE_1) | instskip(NEXT) | instid1(SALU_CYCLE_1)
	s_mul_i32 s8, ttmp9, s8
	s_add_co_i32 s7, s7, s8
	s_wait_kmcnt 0x0
	s_add_co_i32 s5, s26, -1
	s_delay_alu instid0(SALU_CYCLE_1) | instskip(NEXT) | instid1(SALU_CYCLE_1)
	s_ashr_i32 s6, s5, 31
	s_lshr_b32 s6, s6, 28
	s_delay_alu instid0(SALU_CYCLE_1) | instskip(NEXT) | instid1(SALU_CYCLE_1)
	s_add_co_i32 s5, s5, s6
	s_ashr_i32 s5, s5, 4
	s_delay_alu instid0(SALU_CYCLE_1) | instskip(SKIP_2) | instid1(SALU_CYCLE_3)
	s_add_co_i32 s20, s5, 1
	s_not_b32 s5, s5
	s_cvt_f32_u32 s6, s20
	v_rcp_iflag_f32_e32 v1, s6
	v_nop
	s_delay_alu instid0(TRANS32_DEP_1) | instskip(SKIP_3) | instid1(SALU_CYCLE_3)
	v_readfirstlane_b32 s6, v1
	v_bfe_u32 v1, v0, 10, 10
	v_and_b32_e32 v0, 0x3ff, v0
	s_mul_f32 s6, s6, 0x4f7ffffe
	s_cvt_u32_f32 s6, s6
	s_delay_alu instid0(SALU_CYCLE_3) | instskip(NEXT) | instid1(SALU_CYCLE_1)
	s_mul_i32 s5, s5, s6
	s_mul_hi_u32 s5, s6, s5
	s_delay_alu instid0(SALU_CYCLE_1) | instskip(SKIP_2) | instid1(SALU_CYCLE_1)
	s_add_co_i32 s6, s6, s5
	s_cmp_eq_u32 s4, 0
	s_cselect_b32 s21, ttmp9, s7
	s_mul_hi_u32 s22, s21, s6
	s_load_b256 s[4:11], s[0:1], 0x10
	s_mul_i32 s12, s22, s20
	s_add_co_i32 s29, s22, 1
	s_sub_co_i32 s23, s21, s12
	s_load_b256 s[12:19], s[0:1], 0x38
	s_sub_co_i32 s30, s23, s20
	s_cmp_ge_u32 s23, s20
	s_cselect_b32 s22, s29, s22
	s_cselect_b32 s23, s30, s23
	s_add_co_i32 s29, s22, 1
	s_cmp_ge_u32 s23, s20
	s_load_b64 s[30:31], s[0:1], 0x70
	s_cselect_b32 s22, s29, s22
	s_delay_alu instid0(SALU_CYCLE_1) | instskip(SKIP_2) | instid1(SALU_CYCLE_1)
	s_mul_i32 s20, s22, s20
	v_lshl_add_u32 v4, s22, 4, v1
	s_sub_co_i32 s20, s21, s20
	v_lshl_add_u32 v0, s20, 4, v0
	s_load_b128 s[20:23], s[0:1], 0x60
	s_delay_alu instid0(VALU_DEP_2) | instskip(SKIP_1) | instid1(VALU_DEP_2)
	v_cmp_gt_i32_e32 vcc_lo, s27, v4
	s_wait_xcnt 0x0
	v_cmp_gt_i32_e64 s0, s26, v0
	s_and_b32 s26, s0, vcc_lo
	s_cmp_eq_u32 s24, 0x6f
	s_cselect_b32 vcc_lo, -1, 0
	s_cmp_eq_u32 s25, 0x6f
	v_ashrrev_i32_e32 v5, 31, v4
	s_cselect_b32 s0, -1, 0
	v_ashrrev_i32_e32 v1, 31, v0
	s_wait_kmcnt 0x0
	s_lshl_b64 s[8:9], s[8:9], 2
	v_mad_nc_u64_u32 v[6:7], s18, v0, v[4:5]
	v_mad_nc_u64_u32 v[10:11], s10, v0, v[4:5]
	;; [unrolled: 1-line block ×4, first 2 shown]
	v_mul_u64_e32 v[2:3], s[30:31], v[4:5]
	v_mad_u32 v7, s19, v0, v7
	v_mad_u32 v11, s11, v0, v11
	;; [unrolled: 1-line block ×4, first 2 shown]
	s_delay_alu instid0(VALU_DEP_4) | instskip(NEXT) | instid1(VALU_DEP_3)
	v_mad_u32 v4, s18, v1, v7
	v_mad_u32 v7, s18, v5, v9
	;; [unrolled: 1-line block ×3, first 2 shown]
	s_delay_alu instid0(VALU_DEP_4) | instskip(SKIP_2) | instid1(VALU_DEP_3)
	v_mad_u32 v11, s10, v5, v13
	s_lshl_b64 s[10:11], s[16:17], 2
	s_lshl_b64 s[16:17], s[22:23], 2
	v_dual_cndmask_b32 v5, v4, v7, s0 :: v_dual_cndmask_b32 v4, v6, v8, s0
	s_delay_alu instid0(VALU_DEP_2)
	v_dual_cndmask_b32 v7, v9, v11 :: v_dual_cndmask_b32 v6, v10, v12
	v_mov_b32_e32 v12, 0
	s_branch .LBB44_4
.LBB44_2:                               ;   in Loop: Header=BB44_4 Depth=1
	s_lshl_b64 s[0:1], s[2:3], 3
	s_wait_loadcnt_dscnt 0x0
	v_pk_mul_f32 v[8:9], v[8:9], v[10:11]
	s_add_nc_u64 s[0:1], s[20:21], s[0:1]
	s_load_b64 s[0:1], s[0:1], 0x0
	s_delay_alu instid0(VALU_DEP_1) | instskip(SKIP_3) | instid1(SALU_CYCLE_1)
	v_add_f32_e32 v13, v8, v9
	s_wait_kmcnt 0x0
	s_wait_xcnt 0x0
	s_add_nc_u64 s[0:1], s[0:1], s[16:17]
	v_lshl_add_u64 v[10:11], v[2:3], 2, s[0:1]
	s_delay_alu instid0(VALU_DEP_1)
	v_lshl_add_u64 v[8:9], v[0:1], 2, v[10:11]
	flat_store_b32 v[8:9], v13
.LBB44_3:                               ;   in Loop: Header=BB44_4 Depth=1
	s_wait_xcnt 0x0
	s_or_b32 exec_lo, exec_lo, s24
	s_add_co_i32 s2, s2, 0x10000
	s_delay_alu instid0(SALU_CYCLE_1)
	s_cmp_lt_u32 s2, s28
	s_cbranch_scc0 .LBB44_15
.LBB44_4:                               ; =>This Inner Loop Header: Depth=1
	s_and_saveexec_b32 s24, s26
	s_cbranch_execz .LBB44_3
; %bb.5:                                ;   in Loop: Header=BB44_4 Depth=1
	s_clause 0x1
	global_load_b32 v8, v12, s[4:5]
	global_load_b32 v9, v12, s[12:13]
	s_wait_loadcnt 0x1
	v_cmp_neq_f32_e64 s0, 0, v8
	s_and_b32 vcc_lo, exec_lo, s0
	s_cbranch_vccnz .LBB44_7
; %bb.6:                                ;   in Loop: Header=BB44_4 Depth=1
	s_mov_b64 s[18:19], 0
	s_mov_b64 s[22:23], 0
	s_cbranch_execz .LBB44_8
	s_branch .LBB44_9
.LBB44_7:                               ;   in Loop: Header=BB44_4 Depth=1
	s_mov_b64 s[18:19], 0
	s_mov_b64 s[22:23], 0
.LBB44_8:                               ;   in Loop: Header=BB44_4 Depth=1
	s_lshl_b64 s[22:23], s[2:3], 3
	s_delay_alu instid0(SALU_CYCLE_1)
	s_add_nc_u64 s[22:23], s[6:7], s[22:23]
	s_load_b64 s[22:23], s[22:23], 0x0
	s_wait_kmcnt 0x0
	s_wait_xcnt 0x0
	s_add_nc_u64 s[22:23], s[22:23], s[8:9]
.LBB44_9:                               ;   in Loop: Header=BB44_4 Depth=1
	s_wait_loadcnt 0x0
	v_cmp_eq_f32_e32 vcc_lo, 0, v9
	v_cmp_neq_f32_e64 s1, 0, v9
	s_cbranch_vccnz .LBB44_11
; %bb.10:                               ;   in Loop: Header=BB44_4 Depth=1
	s_lshl_b64 s[18:19], s[2:3], 3
	s_delay_alu instid0(SALU_CYCLE_1)
	s_add_nc_u64 s[18:19], s[14:15], s[18:19]
	s_load_b64 s[18:19], s[18:19], 0x0
	s_wait_kmcnt 0x0
	s_wait_xcnt 0x0
	s_add_nc_u64 s[18:19], s[18:19], s[10:11]
.LBB44_11:                              ;   in Loop: Header=BB44_4 Depth=1
	v_dual_mov_b32 v11, 0 :: v_dual_mov_b32 v10, 0
	s_and_not1_b32 vcc_lo, exec_lo, s0
	s_cbranch_vccnz .LBB44_13
; %bb.12:                               ;   in Loop: Header=BB44_4 Depth=1
	v_lshl_add_u64 v[14:15], v[6:7], 2, s[22:23]
	flat_load_b32 v10, v[14:15]
.LBB44_13:                              ;   in Loop: Header=BB44_4 Depth=1
	s_and_not1_b32 vcc_lo, exec_lo, s1
	s_cbranch_vccnz .LBB44_2
; %bb.14:                               ;   in Loop: Header=BB44_4 Depth=1
	s_wait_xcnt 0x0
	v_lshl_add_u64 v[14:15], v[4:5], 2, s[18:19]
	flat_load_b32 v11, v[14:15]
	s_branch .LBB44_2
.LBB44_15:
	s_endpgm
	.section	.rodata,"a",@progbits
	.p2align	6, 0x0
	.amdhsa_kernel _ZL19rocblas_geam_deviceILi16ELi16EPKfPKS1_PKPfEv18rocblas_operation_S7_iiT1_T2_lllS8_S9_lllT3_llli
		.amdhsa_group_segment_fixed_size 0
		.amdhsa_private_segment_fixed_size 0
		.amdhsa_kernarg_size 132
		.amdhsa_user_sgpr_count 2
		.amdhsa_user_sgpr_dispatch_ptr 0
		.amdhsa_user_sgpr_queue_ptr 0
		.amdhsa_user_sgpr_kernarg_segment_ptr 1
		.amdhsa_user_sgpr_dispatch_id 0
		.amdhsa_user_sgpr_kernarg_preload_length 0
		.amdhsa_user_sgpr_kernarg_preload_offset 0
		.amdhsa_user_sgpr_private_segment_size 0
		.amdhsa_wavefront_size32 1
		.amdhsa_uses_dynamic_stack 0
		.amdhsa_enable_private_segment 0
		.amdhsa_system_sgpr_workgroup_id_x 1
		.amdhsa_system_sgpr_workgroup_id_y 0
		.amdhsa_system_sgpr_workgroup_id_z 1
		.amdhsa_system_sgpr_workgroup_info 0
		.amdhsa_system_vgpr_workitem_id 1
		.amdhsa_next_free_vgpr 16
		.amdhsa_next_free_sgpr 32
		.amdhsa_named_barrier_count 0
		.amdhsa_reserve_vcc 1
		.amdhsa_float_round_mode_32 0
		.amdhsa_float_round_mode_16_64 0
		.amdhsa_float_denorm_mode_32 3
		.amdhsa_float_denorm_mode_16_64 3
		.amdhsa_fp16_overflow 0
		.amdhsa_memory_ordered 1
		.amdhsa_forward_progress 1
		.amdhsa_inst_pref_size 7
		.amdhsa_round_robin_scheduling 0
		.amdhsa_exception_fp_ieee_invalid_op 0
		.amdhsa_exception_fp_denorm_src 0
		.amdhsa_exception_fp_ieee_div_zero 0
		.amdhsa_exception_fp_ieee_overflow 0
		.amdhsa_exception_fp_ieee_underflow 0
		.amdhsa_exception_fp_ieee_inexact 0
		.amdhsa_exception_int_div_zero 0
	.end_amdhsa_kernel
	.section	.text._ZL19rocblas_geam_deviceILi16ELi16EPKfPKS1_PKPfEv18rocblas_operation_S7_iiT1_T2_lllS8_S9_lllT3_llli,"axG",@progbits,_ZL19rocblas_geam_deviceILi16ELi16EPKfPKS1_PKPfEv18rocblas_operation_S7_iiT1_T2_lllS8_S9_lllT3_llli,comdat
.Lfunc_end44:
	.size	_ZL19rocblas_geam_deviceILi16ELi16EPKfPKS1_PKPfEv18rocblas_operation_S7_iiT1_T2_lllS8_S9_lllT3_llli, .Lfunc_end44-_ZL19rocblas_geam_deviceILi16ELi16EPKfPKS1_PKPfEv18rocblas_operation_S7_iiT1_T2_lllS8_S9_lllT3_llli
                                        ; -- End function
	.set _ZL19rocblas_geam_deviceILi16ELi16EPKfPKS1_PKPfEv18rocblas_operation_S7_iiT1_T2_lllS8_S9_lllT3_llli.num_vgpr, 16
	.set _ZL19rocblas_geam_deviceILi16ELi16EPKfPKS1_PKPfEv18rocblas_operation_S7_iiT1_T2_lllS8_S9_lllT3_llli.num_agpr, 0
	.set _ZL19rocblas_geam_deviceILi16ELi16EPKfPKS1_PKPfEv18rocblas_operation_S7_iiT1_T2_lllS8_S9_lllT3_llli.numbered_sgpr, 32
	.set _ZL19rocblas_geam_deviceILi16ELi16EPKfPKS1_PKPfEv18rocblas_operation_S7_iiT1_T2_lllS8_S9_lllT3_llli.num_named_barrier, 0
	.set _ZL19rocblas_geam_deviceILi16ELi16EPKfPKS1_PKPfEv18rocblas_operation_S7_iiT1_T2_lllS8_S9_lllT3_llli.private_seg_size, 0
	.set _ZL19rocblas_geam_deviceILi16ELi16EPKfPKS1_PKPfEv18rocblas_operation_S7_iiT1_T2_lllS8_S9_lllT3_llli.uses_vcc, 1
	.set _ZL19rocblas_geam_deviceILi16ELi16EPKfPKS1_PKPfEv18rocblas_operation_S7_iiT1_T2_lllS8_S9_lllT3_llli.uses_flat_scratch, 0
	.set _ZL19rocblas_geam_deviceILi16ELi16EPKfPKS1_PKPfEv18rocblas_operation_S7_iiT1_T2_lllS8_S9_lllT3_llli.has_dyn_sized_stack, 0
	.set _ZL19rocblas_geam_deviceILi16ELi16EPKfPKS1_PKPfEv18rocblas_operation_S7_iiT1_T2_lllS8_S9_lllT3_llli.has_recursion, 0
	.set _ZL19rocblas_geam_deviceILi16ELi16EPKfPKS1_PKPfEv18rocblas_operation_S7_iiT1_T2_lllS8_S9_lllT3_llli.has_indirect_call, 0
	.section	.AMDGPU.csdata,"",@progbits
; Kernel info:
; codeLenInByte = 888
; TotalNumSgprs: 34
; NumVgprs: 16
; ScratchSize: 0
; MemoryBound: 0
; FloatMode: 240
; IeeeMode: 1
; LDSByteSize: 0 bytes/workgroup (compile time only)
; SGPRBlocks: 0
; VGPRBlocks: 0
; NumSGPRsForWavesPerEU: 34
; NumVGPRsForWavesPerEU: 16
; NamedBarCnt: 0
; Occupancy: 16
; WaveLimiterHint : 1
; COMPUTE_PGM_RSRC2:SCRATCH_EN: 0
; COMPUTE_PGM_RSRC2:USER_SGPR: 2
; COMPUTE_PGM_RSRC2:TRAP_HANDLER: 0
; COMPUTE_PGM_RSRC2:TGID_X_EN: 1
; COMPUTE_PGM_RSRC2:TGID_Y_EN: 0
; COMPUTE_PGM_RSRC2:TGID_Z_EN: 1
; COMPUTE_PGM_RSRC2:TIDIG_COMP_CNT: 1
	.section	.text._ZL31rocblas_geam_zero_matrix_deviceILi16ELi16EPKPdEviiT1_llli,"axG",@progbits,_ZL31rocblas_geam_zero_matrix_deviceILi16ELi16EPKPdEviiT1_llli,comdat
	.globl	_ZL31rocblas_geam_zero_matrix_deviceILi16ELi16EPKPdEviiT1_llli ; -- Begin function _ZL31rocblas_geam_zero_matrix_deviceILi16ELi16EPKPdEviiT1_llli
	.p2align	8
	.type	_ZL31rocblas_geam_zero_matrix_deviceILi16ELi16EPKPdEviiT1_llli,@function
_ZL31rocblas_geam_zero_matrix_deviceILi16ELi16EPKPdEviiT1_llli: ; @_ZL31rocblas_geam_zero_matrix_deviceILi16ELi16EPKPdEviiT1_llli
; %bb.0:
	s_load_b32 s2, s[0:1], 0x28
	s_bfe_u32 s3, ttmp6, 0x40014
	s_lshr_b32 s4, ttmp7, 16
	s_add_co_i32 s3, s3, 1
	s_bfe_u32 s5, ttmp6, 0x40008
	s_mul_i32 s3, s4, s3
	s_getreg_b32 s8, hwreg(HW_REG_IB_STS2, 6, 4)
	s_add_co_i32 s5, s5, s3
	s_cmp_eq_u32 s8, 0
	s_cselect_b32 s3, s4, s5
	s_wait_kmcnt 0x0
	s_cmp_ge_u32 s3, s2
	s_cbranch_scc1 .LBB45_5
; %bb.1:
	s_clause 0x1
	s_load_b64 s[10:11], s[0:1], 0x0
	s_load_b128 s[4:7], s[0:1], 0x8
	s_bfe_u32 s15, ttmp6, 0x4000c
	s_and_b32 s14, ttmp6, 15
	s_add_co_i32 s15, s15, 1
	s_wait_xcnt 0x0
	s_load_b64 s[0:1], s[0:1], 0x18
	s_mul_i32 s15, ttmp9, s15
	s_delay_alu instid0(SALU_CYCLE_1) | instskip(SKIP_2) | instid1(SALU_CYCLE_1)
	s_add_co_i32 s14, s14, s15
	s_wait_kmcnt 0x0
	s_add_co_i32 s9, s10, -1
	s_ashr_i32 s12, s9, 31
	s_delay_alu instid0(SALU_CYCLE_1) | instskip(NEXT) | instid1(SALU_CYCLE_1)
	s_lshr_b32 s12, s12, 28
	s_add_co_i32 s9, s9, s12
	s_delay_alu instid0(SALU_CYCLE_1) | instskip(NEXT) | instid1(SALU_CYCLE_1)
	s_ashr_i32 s9, s9, 4
	s_add_co_i32 s12, s9, 1
	s_not_b32 s9, s9
	s_cvt_f32_u32 s13, s12
	s_delay_alu instid0(SALU_CYCLE_3) | instskip(SKIP_1) | instid1(TRANS32_DEP_1)
	v_rcp_iflag_f32_e32 v1, s13
	v_nop
	v_readfirstlane_b32 s13, v1
	v_bfe_u32 v1, v0, 10, 10
	v_and_b32_e32 v0, 0x3ff, v0
	s_mul_f32 s13, s13, 0x4f7ffffe
	s_delay_alu instid0(SALU_CYCLE_3) | instskip(NEXT) | instid1(SALU_CYCLE_3)
	s_cvt_u32_f32 s13, s13
	s_mul_i32 s9, s9, s13
	s_delay_alu instid0(SALU_CYCLE_1) | instskip(NEXT) | instid1(SALU_CYCLE_1)
	s_mul_hi_u32 s9, s13, s9
	s_add_co_i32 s13, s13, s9
	s_cmp_eq_u32 s8, 0
	s_cselect_b32 s8, ttmp9, s14
	s_delay_alu instid0(SALU_CYCLE_1) | instskip(NEXT) | instid1(SALU_CYCLE_1)
	s_mul_hi_u32 s9, s8, s13
	s_mul_i32 s13, s9, s12
	s_add_co_i32 s14, s9, 1
	s_sub_co_i32 s13, s8, s13
	s_delay_alu instid0(SALU_CYCLE_1)
	s_sub_co_i32 s15, s13, s12
	s_cmp_ge_u32 s13, s12
	s_cselect_b32 s9, s14, s9
	s_cselect_b32 s13, s15, s13
	s_add_co_i32 s14, s9, 1
	s_cmp_ge_u32 s13, s12
	s_cselect_b32 s9, s14, s9
	s_delay_alu instid0(SALU_CYCLE_1) | instskip(SKIP_1) | instid1(VALU_DEP_1)
	v_lshl_add_u32 v4, s9, 4, v1
	s_mul_i32 s9, s9, s12
	v_ashrrev_i32_e32 v5, 31, v4
	s_delay_alu instid0(VALU_DEP_1) | instskip(SKIP_1) | instid1(SALU_CYCLE_1)
	v_mul_u64_e32 v[2:3], s[0:1], v[4:5]
	s_sub_co_i32 s0, s8, s9
	v_lshl_add_u32 v0, s0, 4, v0
	v_cmp_gt_i32_e64 s0, s11, v4
	v_mov_b64_e32 v[4:5], 0
	s_delay_alu instid0(VALU_DEP_3)
	v_cmp_gt_i32_e32 vcc_lo, s10, v0
	v_ashrrev_i32_e32 v1, 31, v0
	s_and_b32 s8, vcc_lo, s0
	s_lshl_b64 s[0:1], s[6:7], 3
	s_branch .LBB45_3
.LBB45_2:                               ;   in Loop: Header=BB45_3 Depth=1
	s_wait_xcnt 0x0
	s_or_b32 exec_lo, exec_lo, s6
	s_add_co_i32 s3, s3, 0x10000
	s_delay_alu instid0(SALU_CYCLE_1)
	s_cmp_lt_u32 s3, s2
	s_cbranch_scc0 .LBB45_5
.LBB45_3:                               ; =>This Inner Loop Header: Depth=1
	s_and_saveexec_b32 s6, s8
	s_cbranch_execz .LBB45_2
; %bb.4:                                ;   in Loop: Header=BB45_3 Depth=1
	s_load_b64 s[10:11], s[4:5], s3 offset:0x0 scale_offset
	s_wait_kmcnt 0x0
	s_add_nc_u64 s[10:11], s[10:11], s[0:1]
	s_delay_alu instid0(SALU_CYCLE_1) | instskip(NEXT) | instid1(VALU_DEP_1)
	v_lshl_add_u64 v[6:7], v[2:3], 3, s[10:11]
	v_lshl_add_u64 v[6:7], v[0:1], 3, v[6:7]
	flat_store_b64 v[6:7], v[4:5]
	s_branch .LBB45_2
.LBB45_5:
	s_endpgm
	.section	.rodata,"a",@progbits
	.p2align	6, 0x0
	.amdhsa_kernel _ZL31rocblas_geam_zero_matrix_deviceILi16ELi16EPKPdEviiT1_llli
		.amdhsa_group_segment_fixed_size 0
		.amdhsa_private_segment_fixed_size 0
		.amdhsa_kernarg_size 44
		.amdhsa_user_sgpr_count 2
		.amdhsa_user_sgpr_dispatch_ptr 0
		.amdhsa_user_sgpr_queue_ptr 0
		.amdhsa_user_sgpr_kernarg_segment_ptr 1
		.amdhsa_user_sgpr_dispatch_id 0
		.amdhsa_user_sgpr_kernarg_preload_length 0
		.amdhsa_user_sgpr_kernarg_preload_offset 0
		.amdhsa_user_sgpr_private_segment_size 0
		.amdhsa_wavefront_size32 1
		.amdhsa_uses_dynamic_stack 0
		.amdhsa_enable_private_segment 0
		.amdhsa_system_sgpr_workgroup_id_x 1
		.amdhsa_system_sgpr_workgroup_id_y 0
		.amdhsa_system_sgpr_workgroup_id_z 1
		.amdhsa_system_sgpr_workgroup_info 0
		.amdhsa_system_vgpr_workitem_id 1
		.amdhsa_next_free_vgpr 8
		.amdhsa_next_free_sgpr 16
		.amdhsa_named_barrier_count 0
		.amdhsa_reserve_vcc 1
		.amdhsa_float_round_mode_32 0
		.amdhsa_float_round_mode_16_64 0
		.amdhsa_float_denorm_mode_32 3
		.amdhsa_float_denorm_mode_16_64 3
		.amdhsa_fp16_overflow 0
		.amdhsa_memory_ordered 1
		.amdhsa_forward_progress 1
		.amdhsa_inst_pref_size 4
		.amdhsa_round_robin_scheduling 0
		.amdhsa_exception_fp_ieee_invalid_op 0
		.amdhsa_exception_fp_denorm_src 0
		.amdhsa_exception_fp_ieee_div_zero 0
		.amdhsa_exception_fp_ieee_overflow 0
		.amdhsa_exception_fp_ieee_underflow 0
		.amdhsa_exception_fp_ieee_inexact 0
		.amdhsa_exception_int_div_zero 0
	.end_amdhsa_kernel
	.section	.text._ZL31rocblas_geam_zero_matrix_deviceILi16ELi16EPKPdEviiT1_llli,"axG",@progbits,_ZL31rocblas_geam_zero_matrix_deviceILi16ELi16EPKPdEviiT1_llli,comdat
.Lfunc_end45:
	.size	_ZL31rocblas_geam_zero_matrix_deviceILi16ELi16EPKPdEviiT1_llli, .Lfunc_end45-_ZL31rocblas_geam_zero_matrix_deviceILi16ELi16EPKPdEviiT1_llli
                                        ; -- End function
	.set _ZL31rocblas_geam_zero_matrix_deviceILi16ELi16EPKPdEviiT1_llli.num_vgpr, 8
	.set _ZL31rocblas_geam_zero_matrix_deviceILi16ELi16EPKPdEviiT1_llli.num_agpr, 0
	.set _ZL31rocblas_geam_zero_matrix_deviceILi16ELi16EPKPdEviiT1_llli.numbered_sgpr, 16
	.set _ZL31rocblas_geam_zero_matrix_deviceILi16ELi16EPKPdEviiT1_llli.num_named_barrier, 0
	.set _ZL31rocblas_geam_zero_matrix_deviceILi16ELi16EPKPdEviiT1_llli.private_seg_size, 0
	.set _ZL31rocblas_geam_zero_matrix_deviceILi16ELi16EPKPdEviiT1_llli.uses_vcc, 1
	.set _ZL31rocblas_geam_zero_matrix_deviceILi16ELi16EPKPdEviiT1_llli.uses_flat_scratch, 0
	.set _ZL31rocblas_geam_zero_matrix_deviceILi16ELi16EPKPdEviiT1_llli.has_dyn_sized_stack, 0
	.set _ZL31rocblas_geam_zero_matrix_deviceILi16ELi16EPKPdEviiT1_llli.has_recursion, 0
	.set _ZL31rocblas_geam_zero_matrix_deviceILi16ELi16EPKPdEviiT1_llli.has_indirect_call, 0
	.section	.AMDGPU.csdata,"",@progbits
; Kernel info:
; codeLenInByte = 460
; TotalNumSgprs: 18
; NumVgprs: 8
; ScratchSize: 0
; MemoryBound: 0
; FloatMode: 240
; IeeeMode: 1
; LDSByteSize: 0 bytes/workgroup (compile time only)
; SGPRBlocks: 0
; VGPRBlocks: 0
; NumSGPRsForWavesPerEU: 18
; NumVGPRsForWavesPerEU: 8
; NamedBarCnt: 0
; Occupancy: 16
; WaveLimiterHint : 1
; COMPUTE_PGM_RSRC2:SCRATCH_EN: 0
; COMPUTE_PGM_RSRC2:USER_SGPR: 2
; COMPUTE_PGM_RSRC2:TRAP_HANDLER: 0
; COMPUTE_PGM_RSRC2:TGID_X_EN: 1
; COMPUTE_PGM_RSRC2:TGID_Y_EN: 0
; COMPUTE_PGM_RSRC2:TGID_Z_EN: 1
; COMPUTE_PGM_RSRC2:TIDIG_COMP_CNT: 1
	.section	.text._ZL27rocblas_geam_inplace_deviceILi16ELi16EdPKPKdPKPdEv18rocblas_operation_iiT1_S8_T2_lllT3_llli,"axG",@progbits,_ZL27rocblas_geam_inplace_deviceILi16ELi16EdPKPKdPKPdEv18rocblas_operation_iiT1_S8_T2_lllT3_llli,comdat
	.globl	_ZL27rocblas_geam_inplace_deviceILi16ELi16EdPKPKdPKPdEv18rocblas_operation_iiT1_S8_T2_lllT3_llli ; -- Begin function _ZL27rocblas_geam_inplace_deviceILi16ELi16EdPKPKdPKPdEv18rocblas_operation_iiT1_S8_T2_lllT3_llli
	.p2align	8
	.type	_ZL27rocblas_geam_inplace_deviceILi16ELi16EdPKPKdPKPdEv18rocblas_operation_iiT1_S8_T2_lllT3_llli,@function
_ZL27rocblas_geam_inplace_deviceILi16ELi16EdPKPKdPKPdEv18rocblas_operation_iiT1_S8_T2_lllT3_llli: ; @_ZL27rocblas_geam_inplace_deviceILi16ELi16EdPKPKdPKPdEv18rocblas_operation_iiT1_S8_T2_lllT3_llli
; %bb.0:
	s_load_b32 s19, s[0:1], 0x60
	s_bfe_u32 s2, ttmp6, 0x40014
	s_lshr_b32 s3, ttmp7, 16
	s_add_co_i32 s2, s2, 1
	s_bfe_u32 s5, ttmp6, 0x40008
	s_mul_i32 s2, s3, s2
	s_getreg_b32 s4, hwreg(HW_REG_IB_STS2, 6, 4)
	s_add_co_i32 s5, s5, s2
	s_cmp_eq_u32 s4, 0
	s_cselect_b32 s2, s3, s5
	s_mov_b32 s3, 0
	s_wait_kmcnt 0x0
	s_cmp_ge_u32 s2, s19
	s_cbranch_scc1 .LBB46_15
; %bb.1:
	s_clause 0x1
	s_load_b96 s[16:18], s[0:1], 0x0
	s_load_b64 s[22:23], s[0:1], 0x30
	s_bfe_u32 s8, ttmp6, 0x4000c
	s_and_b32 s7, ttmp6, 15
	s_add_co_i32 s8, s8, 1
	s_load_b64 s[24:25], s[0:1], 0x50
	s_mul_i32 s8, ttmp9, s8
	s_delay_alu instid0(SALU_CYCLE_1) | instskip(SKIP_2) | instid1(SALU_CYCLE_1)
	s_add_co_i32 s7, s7, s8
	s_wait_kmcnt 0x0
	s_add_co_i32 s5, s17, -1
	s_ashr_i32 s6, s5, 31
	s_delay_alu instid0(SALU_CYCLE_1) | instskip(NEXT) | instid1(SALU_CYCLE_1)
	s_lshr_b32 s6, s6, 28
	s_add_co_i32 s5, s5, s6
	s_delay_alu instid0(SALU_CYCLE_1) | instskip(NEXT) | instid1(SALU_CYCLE_1)
	s_ashr_i32 s5, s5, 4
	s_add_co_i32 s12, s5, 1
	s_not_b32 s5, s5
	s_cvt_f32_u32 s6, s12
	s_delay_alu instid0(SALU_CYCLE_3) | instskip(SKIP_1) | instid1(TRANS32_DEP_1)
	v_rcp_iflag_f32_e32 v1, s6
	v_nop
	v_readfirstlane_b32 s6, v1
	v_bfe_u32 v1, v0, 10, 10
	v_and_b32_e32 v0, 0x3ff, v0
	s_mul_f32 s6, s6, 0x4f7ffffe
	s_delay_alu instid0(SALU_CYCLE_3) | instskip(NEXT) | instid1(SALU_CYCLE_3)
	s_cvt_u32_f32 s6, s6
	s_mul_i32 s5, s5, s6
	s_delay_alu instid0(SALU_CYCLE_1) | instskip(NEXT) | instid1(SALU_CYCLE_1)
	s_mul_hi_u32 s5, s6, s5
	s_add_co_i32 s6, s6, s5
	s_cmp_eq_u32 s4, 0
	s_cselect_b32 s13, ttmp9, s7
	s_delay_alu instid0(SALU_CYCLE_1) | instskip(SKIP_4) | instid1(SALU_CYCLE_1)
	s_mul_hi_u32 s14, s13, s6
	s_load_b256 s[4:11], s[0:1], 0x10
	s_mul_i32 s15, s14, s12
	s_add_co_i32 s20, s14, 1
	s_sub_co_i32 s15, s13, s15
	s_sub_co_i32 s21, s15, s12
	s_cmp_ge_u32 s15, s12
	s_cselect_b32 s14, s20, s14
	s_cselect_b32 s15, s21, s15
	s_add_co_i32 s20, s14, 1
	s_cmp_ge_u32 s15, s12
	s_cselect_b32 s14, s20, s14
	s_delay_alu instid0(SALU_CYCLE_1) | instskip(SKIP_2) | instid1(SALU_CYCLE_1)
	s_mul_i32 s12, s14, s12
	v_lshl_add_u32 v2, s14, 4, v1
	s_sub_co_i32 s12, s13, s12
	v_lshl_add_u32 v4, s12, 4, v0
	s_load_b128 s[12:15], s[0:1], 0x40
	s_delay_alu instid0(VALU_DEP_2)
	v_ashrrev_i32_e32 v3, 31, v2
	v_cmp_gt_i32_e32 vcc_lo, s18, v2
	s_wait_kmcnt 0x0
	v_cmp_neq_f64_e64 s20, s[6:7], 0
	v_ashrrev_i32_e32 v5, 31, v4
	v_cmp_gt_i32_e64 s0, s17, v4
	v_mad_nc_u64_u32 v[6:7], s22, v4, v[2:3]
	s_delay_alu instid0(VALU_DEP_3)
	v_mad_nc_u64_u32 v[8:9], s22, v2, v[4:5]
	v_mad_nc_u64_u32 v[0:1], s24, v2, v[4:5]
	s_and_b32 s17, s0, vcc_lo
	s_cmp_eq_u32 s16, 0x6f
	v_cmp_neq_f64_e64 s16, s[4:5], 0
	s_cselect_b32 vcc_lo, -1, 0
	s_lshl_b64 s[10:11], s[10:11], 3
	v_mad_u32 v7, s23, v4, v7
	s_lshl_b64 s[0:1], s[14:15], 3
	v_mad_u32 v9, s23, v2, v9
	v_mad_u32 v1, s25, v2, v1
	s_delay_alu instid0(VALU_DEP_3) | instskip(NEXT) | instid1(VALU_DEP_3)
	v_mad_u32 v2, s22, v5, v7
	v_mad_u32 v5, s22, v3, v9
	s_delay_alu instid0(VALU_DEP_3) | instskip(NEXT) | instid1(VALU_DEP_2)
	v_mad_u32 v1, s24, v3, v1
	v_cndmask_b32_e32 v3, v2, v5, vcc_lo
	v_cndmask_b32_e32 v2, v6, v8, vcc_lo
	s_branch .LBB46_5
.LBB46_2:                               ;   in Loop: Header=BB46_5 Depth=1
	flat_load_b64 v[6:7], v[4:5]
	s_wait_loadcnt_dscnt 0x0
	v_mul_f64_e32 v[6:7], s[4:5], v[6:7]
.LBB46_3:                               ;   in Loop: Header=BB46_5 Depth=1
	flat_store_b64 v[4:5], v[6:7]
.LBB46_4:                               ;   in Loop: Header=BB46_5 Depth=1
	s_wait_xcnt 0x0
	s_or_b32 exec_lo, exec_lo, s14
	s_add_co_i32 s2, s2, 0x10000
	s_delay_alu instid0(SALU_CYCLE_1)
	s_cmp_lt_u32 s2, s19
	s_cbranch_scc0 .LBB46_15
.LBB46_5:                               ; =>This Inner Loop Header: Depth=1
	s_and_saveexec_b32 s14, s17
	s_cbranch_execz .LBB46_4
; %bb.6:                                ;   in Loop: Header=BB46_5 Depth=1
	s_load_b64 s[22:23], s[12:13], s2 offset:0x0 scale_offset
	s_and_b32 vcc_lo, exec_lo, s20
	s_wait_kmcnt 0x0
	s_add_nc_u64 s[22:23], s[22:23], s[0:1]
	s_delay_alu instid0(VALU_DEP_3) | instid1(SALU_CYCLE_1)
	v_lshl_add_u64 v[4:5], v[0:1], 3, s[22:23]
	s_cbranch_vccz .LBB46_11
; %bb.7:                                ;   in Loop: Header=BB46_5 Depth=1
	s_lshl_b64 s[22:23], s[2:3], 3
	s_and_b32 vcc_lo, exec_lo, s16
	s_add_nc_u64 s[22:23], s[8:9], s[22:23]
	s_load_b64 s[22:23], s[22:23], 0x0
	s_wait_kmcnt 0x0
	s_wait_xcnt 0x0
	s_add_nc_u64 s[22:23], s[22:23], s[10:11]
	s_delay_alu instid0(SALU_CYCLE_1)
	v_lshl_add_u64 v[6:7], v[2:3], 3, s[22:23]
	flat_load_b64 v[6:7], v[6:7]
	s_wait_loadcnt_dscnt 0x0
	s_wait_xcnt 0x0
	v_mul_f64_e32 v[6:7], s[6:7], v[6:7]
	s_cbranch_vccz .LBB46_14
; %bb.8:                                ;   in Loop: Header=BB46_5 Depth=1
	flat_load_b64 v[8:9], v[4:5]
	s_wait_loadcnt_dscnt 0x0
	v_fma_f64 v[8:9], s[4:5], v[8:9], v[6:7]
	flat_store_b64 v[4:5], v[8:9]
	s_cbranch_execnz .LBB46_10
.LBB46_9:                               ;   in Loop: Header=BB46_5 Depth=1
	flat_store_b64 v[4:5], v[6:7]
.LBB46_10:                              ;   in Loop: Header=BB46_5 Depth=1
	s_cbranch_execnz .LBB46_4
	s_branch .LBB46_12
.LBB46_11:                              ;   in Loop: Header=BB46_5 Depth=1
.LBB46_12:                              ;   in Loop: Header=BB46_5 Depth=1
	s_and_not1_b32 vcc_lo, exec_lo, s16
	s_cbranch_vccz .LBB46_2
; %bb.13:                               ;   in Loop: Header=BB46_5 Depth=1
	s_wait_xcnt 0x0
	v_mov_b64_e32 v[6:7], 0
	s_branch .LBB46_3
.LBB46_14:                              ;   in Loop: Header=BB46_5 Depth=1
	s_branch .LBB46_9
.LBB46_15:
	s_endpgm
	.section	.rodata,"a",@progbits
	.p2align	6, 0x0
	.amdhsa_kernel _ZL27rocblas_geam_inplace_deviceILi16ELi16EdPKPKdPKPdEv18rocblas_operation_iiT1_S8_T2_lllT3_llli
		.amdhsa_group_segment_fixed_size 0
		.amdhsa_private_segment_fixed_size 0
		.amdhsa_kernarg_size 100
		.amdhsa_user_sgpr_count 2
		.amdhsa_user_sgpr_dispatch_ptr 0
		.amdhsa_user_sgpr_queue_ptr 0
		.amdhsa_user_sgpr_kernarg_segment_ptr 1
		.amdhsa_user_sgpr_dispatch_id 0
		.amdhsa_user_sgpr_kernarg_preload_length 0
		.amdhsa_user_sgpr_kernarg_preload_offset 0
		.amdhsa_user_sgpr_private_segment_size 0
		.amdhsa_wavefront_size32 1
		.amdhsa_uses_dynamic_stack 0
		.amdhsa_enable_private_segment 0
		.amdhsa_system_sgpr_workgroup_id_x 1
		.amdhsa_system_sgpr_workgroup_id_y 0
		.amdhsa_system_sgpr_workgroup_id_z 1
		.amdhsa_system_sgpr_workgroup_info 0
		.amdhsa_system_vgpr_workitem_id 1
		.amdhsa_next_free_vgpr 10
		.amdhsa_next_free_sgpr 26
		.amdhsa_named_barrier_count 0
		.amdhsa_reserve_vcc 1
		.amdhsa_float_round_mode_32 0
		.amdhsa_float_round_mode_16_64 0
		.amdhsa_float_denorm_mode_32 3
		.amdhsa_float_denorm_mode_16_64 3
		.amdhsa_fp16_overflow 0
		.amdhsa_memory_ordered 1
		.amdhsa_forward_progress 1
		.amdhsa_inst_pref_size 6
		.amdhsa_round_robin_scheduling 0
		.amdhsa_exception_fp_ieee_invalid_op 0
		.amdhsa_exception_fp_denorm_src 0
		.amdhsa_exception_fp_ieee_div_zero 0
		.amdhsa_exception_fp_ieee_overflow 0
		.amdhsa_exception_fp_ieee_underflow 0
		.amdhsa_exception_fp_ieee_inexact 0
		.amdhsa_exception_int_div_zero 0
	.end_amdhsa_kernel
	.section	.text._ZL27rocblas_geam_inplace_deviceILi16ELi16EdPKPKdPKPdEv18rocblas_operation_iiT1_S8_T2_lllT3_llli,"axG",@progbits,_ZL27rocblas_geam_inplace_deviceILi16ELi16EdPKPKdPKPdEv18rocblas_operation_iiT1_S8_T2_lllT3_llli,comdat
.Lfunc_end46:
	.size	_ZL27rocblas_geam_inplace_deviceILi16ELi16EdPKPKdPKPdEv18rocblas_operation_iiT1_S8_T2_lllT3_llli, .Lfunc_end46-_ZL27rocblas_geam_inplace_deviceILi16ELi16EdPKPKdPKPdEv18rocblas_operation_iiT1_S8_T2_lllT3_llli
                                        ; -- End function
	.set _ZL27rocblas_geam_inplace_deviceILi16ELi16EdPKPKdPKPdEv18rocblas_operation_iiT1_S8_T2_lllT3_llli.num_vgpr, 10
	.set _ZL27rocblas_geam_inplace_deviceILi16ELi16EdPKPKdPKPdEv18rocblas_operation_iiT1_S8_T2_lllT3_llli.num_agpr, 0
	.set _ZL27rocblas_geam_inplace_deviceILi16ELi16EdPKPKdPKPdEv18rocblas_operation_iiT1_S8_T2_lllT3_llli.numbered_sgpr, 26
	.set _ZL27rocblas_geam_inplace_deviceILi16ELi16EdPKPKdPKPdEv18rocblas_operation_iiT1_S8_T2_lllT3_llli.num_named_barrier, 0
	.set _ZL27rocblas_geam_inplace_deviceILi16ELi16EdPKPKdPKPdEv18rocblas_operation_iiT1_S8_T2_lllT3_llli.private_seg_size, 0
	.set _ZL27rocblas_geam_inplace_deviceILi16ELi16EdPKPKdPKPdEv18rocblas_operation_iiT1_S8_T2_lllT3_llli.uses_vcc, 1
	.set _ZL27rocblas_geam_inplace_deviceILi16ELi16EdPKPKdPKPdEv18rocblas_operation_iiT1_S8_T2_lllT3_llli.uses_flat_scratch, 0
	.set _ZL27rocblas_geam_inplace_deviceILi16ELi16EdPKPKdPKPdEv18rocblas_operation_iiT1_S8_T2_lllT3_llli.has_dyn_sized_stack, 0
	.set _ZL27rocblas_geam_inplace_deviceILi16ELi16EdPKPKdPKPdEv18rocblas_operation_iiT1_S8_T2_lllT3_llli.has_recursion, 0
	.set _ZL27rocblas_geam_inplace_deviceILi16ELi16EdPKPKdPKPdEv18rocblas_operation_iiT1_S8_T2_lllT3_llli.has_indirect_call, 0
	.section	.AMDGPU.csdata,"",@progbits
; Kernel info:
; codeLenInByte = 760
; TotalNumSgprs: 28
; NumVgprs: 10
; ScratchSize: 0
; MemoryBound: 0
; FloatMode: 240
; IeeeMode: 1
; LDSByteSize: 0 bytes/workgroup (compile time only)
; SGPRBlocks: 0
; VGPRBlocks: 0
; NumSGPRsForWavesPerEU: 28
; NumVGPRsForWavesPerEU: 10
; NamedBarCnt: 0
; Occupancy: 16
; WaveLimiterHint : 1
; COMPUTE_PGM_RSRC2:SCRATCH_EN: 0
; COMPUTE_PGM_RSRC2:USER_SGPR: 2
; COMPUTE_PGM_RSRC2:TRAP_HANDLER: 0
; COMPUTE_PGM_RSRC2:TGID_X_EN: 1
; COMPUTE_PGM_RSRC2:TGID_Y_EN: 0
; COMPUTE_PGM_RSRC2:TGID_Z_EN: 1
; COMPUTE_PGM_RSRC2:TIDIG_COMP_CNT: 1
	.section	.text._ZL27rocblas_geam_inplace_deviceILi16ELi16EPKdPKS1_PKPdEv18rocblas_operation_iiT1_S8_T2_lllT3_llli,"axG",@progbits,_ZL27rocblas_geam_inplace_deviceILi16ELi16EPKdPKS1_PKPdEv18rocblas_operation_iiT1_S8_T2_lllT3_llli,comdat
	.globl	_ZL27rocblas_geam_inplace_deviceILi16ELi16EPKdPKS1_PKPdEv18rocblas_operation_iiT1_S8_T2_lllT3_llli ; -- Begin function _ZL27rocblas_geam_inplace_deviceILi16ELi16EPKdPKS1_PKPdEv18rocblas_operation_iiT1_S8_T2_lllT3_llli
	.p2align	8
	.type	_ZL27rocblas_geam_inplace_deviceILi16ELi16EPKdPKS1_PKPdEv18rocblas_operation_iiT1_S8_T2_lllT3_llli,@function
_ZL27rocblas_geam_inplace_deviceILi16ELi16EPKdPKS1_PKPdEv18rocblas_operation_iiT1_S8_T2_lllT3_llli: ; @_ZL27rocblas_geam_inplace_deviceILi16ELi16EPKdPKS1_PKPdEv18rocblas_operation_iiT1_S8_T2_lllT3_llli
; %bb.0:
	s_load_b32 s19, s[0:1], 0x60
	s_bfe_u32 s2, ttmp6, 0x40014
	s_lshr_b32 s3, ttmp7, 16
	s_add_co_i32 s2, s2, 1
	s_bfe_u32 s5, ttmp6, 0x40008
	s_mul_i32 s2, s3, s2
	s_getreg_b32 s4, hwreg(HW_REG_IB_STS2, 6, 4)
	s_add_co_i32 s5, s5, s2
	s_cmp_eq_u32 s4, 0
	s_cselect_b32 s2, s3, s5
	s_mov_b32 s3, 0
	s_wait_kmcnt 0x0
	s_cmp_ge_u32 s2, s19
	s_cbranch_scc1 .LBB47_14
; %bb.1:
	s_clause 0x1
	s_load_b96 s[16:18], s[0:1], 0x0
	s_load_b64 s[20:21], s[0:1], 0x30
	s_bfe_u32 s9, ttmp6, 0x4000c
	s_and_b32 s8, ttmp6, 15
	s_add_co_i32 s9, s9, 1
	s_clause 0x1
	s_load_b64 s[22:23], s[0:1], 0x50
	s_load_b128 s[12:15], s[0:1], 0x40
	s_mul_i32 s9, ttmp9, s9
	v_mov_b32_e32 v10, 0
	s_add_co_i32 s8, s8, s9
	s_wait_kmcnt 0x0
	s_add_co_i32 s5, s17, -1
	s_delay_alu instid0(SALU_CYCLE_1) | instskip(NEXT) | instid1(SALU_CYCLE_1)
	s_ashr_i32 s6, s5, 31
	s_lshr_b32 s6, s6, 28
	s_delay_alu instid0(SALU_CYCLE_1) | instskip(NEXT) | instid1(SALU_CYCLE_1)
	s_add_co_i32 s5, s5, s6
	s_ashr_i32 s5, s5, 4
	s_delay_alu instid0(SALU_CYCLE_1) | instskip(SKIP_2) | instid1(SALU_CYCLE_3)
	s_add_co_i32 s6, s5, 1
	s_not_b32 s5, s5
	s_cvt_f32_u32 s7, s6
	v_rcp_iflag_f32_e32 v1, s7
	v_nop
	s_delay_alu instid0(TRANS32_DEP_1) | instskip(SKIP_3) | instid1(SALU_CYCLE_3)
	v_readfirstlane_b32 s7, v1
	v_bfe_u32 v1, v0, 10, 10
	v_and_b32_e32 v0, 0x3ff, v0
	s_mul_f32 s7, s7, 0x4f7ffffe
	s_cvt_u32_f32 s7, s7
	s_delay_alu instid0(SALU_CYCLE_3) | instskip(NEXT) | instid1(SALU_CYCLE_1)
	s_mul_i32 s5, s5, s7
	s_mul_hi_u32 s5, s7, s5
	s_delay_alu instid0(SALU_CYCLE_1) | instskip(SKIP_2) | instid1(SALU_CYCLE_1)
	s_add_co_i32 s7, s7, s5
	s_cmp_eq_u32 s4, 0
	s_cselect_b32 s4, ttmp9, s8
	s_mul_hi_u32 s5, s4, s7
	s_delay_alu instid0(SALU_CYCLE_1) | instskip(SKIP_2) | instid1(SALU_CYCLE_1)
	s_mul_i32 s7, s5, s6
	s_add_co_i32 s8, s5, 1
	s_sub_co_i32 s7, s4, s7
	s_sub_co_i32 s9, s7, s6
	s_cmp_ge_u32 s7, s6
	s_cselect_b32 s5, s8, s5
	s_cselect_b32 s7, s9, s7
	s_add_co_i32 s8, s5, 1
	s_cmp_ge_u32 s7, s6
	s_cselect_b32 s5, s8, s5
	s_delay_alu instid0(SALU_CYCLE_1) | instskip(SKIP_2) | instid1(SALU_CYCLE_1)
	s_mul_i32 s6, s5, s6
	v_lshl_add_u32 v2, s5, 4, v1
	s_sub_co_i32 s4, s4, s6
	v_lshl_add_u32 v4, s4, 4, v0
	s_load_b256 s[4:11], s[0:1], 0x10
	s_delay_alu instid0(VALU_DEP_2) | instskip(SKIP_1) | instid1(VALU_DEP_3)
	v_ashrrev_i32_e32 v3, 31, v2
	v_cmp_gt_i32_e32 vcc_lo, s18, v2
	v_ashrrev_i32_e32 v5, 31, v4
	s_wait_xcnt 0x0
	v_cmp_gt_i32_e64 s0, s17, v4
	v_mad_nc_u64_u32 v[6:7], s20, v4, v[2:3]
	s_delay_alu instid0(VALU_DEP_3)
	v_mad_nc_u64_u32 v[8:9], s20, v2, v[4:5]
	v_mad_nc_u64_u32 v[0:1], s22, v2, v[4:5]
	s_and_b32 s17, s0, vcc_lo
	s_cmp_eq_u32 s16, 0x6f
	s_cselect_b32 vcc_lo, -1, 0
	s_lshl_b64 s[0:1], s[14:15], 3
	s_delay_alu instid0(VALU_DEP_3) | instskip(NEXT) | instid1(VALU_DEP_3)
	v_mad_u32 v7, s21, v4, v7
	v_mad_u32 v9, s21, v2, v9
	s_delay_alu instid0(VALU_DEP_3) | instskip(SKIP_2) | instid1(VALU_DEP_3)
	v_mad_u32 v1, s23, v2, v1
	s_wait_kmcnt 0x0
	s_lshl_b64 s[10:11], s[10:11], 3
	v_mad_u32 v2, s20, v5, v7
	s_delay_alu instid0(VALU_DEP_3) | instskip(NEXT) | instid1(VALU_DEP_3)
	v_mad_u32 v5, s20, v3, v9
	v_mad_u32 v1, s22, v3, v1
	s_delay_alu instid0(VALU_DEP_2)
	v_cndmask_b32_e32 v3, v2, v5, vcc_lo
	v_cndmask_b32_e32 v2, v6, v8, vcc_lo
	s_branch .LBB47_4
.LBB47_2:                               ;   in Loop: Header=BB47_4 Depth=1
	flat_store_b64 v[6:7], v[8:9]
.LBB47_3:                               ;   in Loop: Header=BB47_4 Depth=1
	s_wait_xcnt 0x0
	s_or_b32 exec_lo, exec_lo, s14
	s_add_co_i32 s2, s2, 0x10000
	s_delay_alu instid0(SALU_CYCLE_1)
	s_cmp_lt_u32 s2, s19
	s_cbranch_scc0 .LBB47_14
.LBB47_4:                               ; =>This Inner Loop Header: Depth=1
	s_and_saveexec_b32 s14, s17
	s_cbranch_execz .LBB47_3
; %bb.5:                                ;   in Loop: Header=BB47_4 Depth=1
	global_load_b64 v[8:9], v10, s[6:7]
	s_wait_loadcnt 0x1
	global_load_b64 v[4:5], v10, s[4:5]
	s_load_b64 s[20:21], s[12:13], s2 offset:0x0 scale_offset
	s_wait_kmcnt 0x0
	s_add_nc_u64 s[20:21], s[20:21], s[0:1]
	s_delay_alu instid0(SALU_CYCLE_1)
	v_lshl_add_u64 v[6:7], v[0:1], 3, s[20:21]
	s_wait_loadcnt 0x1
	v_cmp_neq_f64_e32 vcc_lo, 0, v[8:9]
	s_cbranch_vccz .LBB47_10
; %bb.6:                                ;   in Loop: Header=BB47_4 Depth=1
	s_lshl_b64 s[20:21], s[2:3], 3
	s_wait_loadcnt 0x0
	v_cmp_neq_f64_e32 vcc_lo, 0, v[4:5]
	s_add_nc_u64 s[20:21], s[8:9], s[20:21]
	s_load_b64 s[20:21], s[20:21], 0x0
	s_wait_kmcnt 0x0
	s_wait_xcnt 0x0
	s_add_nc_u64 s[20:21], s[20:21], s[10:11]
	s_delay_alu instid0(SALU_CYCLE_1)
	v_lshl_add_u64 v[12:13], v[2:3], 3, s[20:21]
	flat_load_b64 v[12:13], v[12:13]
	s_wait_loadcnt_dscnt 0x0
	v_mul_f64_e32 v[8:9], v[8:9], v[12:13]
	s_cbranch_vccz .LBB47_13
; %bb.7:                                ;   in Loop: Header=BB47_4 Depth=1
	flat_load_b64 v[12:13], v[6:7]
	s_wait_loadcnt_dscnt 0x0
	v_fma_f64 v[12:13], v[4:5], v[12:13], v[8:9]
	flat_store_b64 v[6:7], v[12:13]
	s_cbranch_execnz .LBB47_9
.LBB47_8:                               ;   in Loop: Header=BB47_4 Depth=1
	flat_store_b64 v[6:7], v[8:9]
.LBB47_9:                               ;   in Loop: Header=BB47_4 Depth=1
	s_cbranch_execnz .LBB47_3
	s_branch .LBB47_11
.LBB47_10:                              ;   in Loop: Header=BB47_4 Depth=1
.LBB47_11:                              ;   in Loop: Header=BB47_4 Depth=1
	s_wait_loadcnt 0x0
	v_cmp_eq_f64_e32 vcc_lo, 0, v[4:5]
	s_wait_xcnt 0x0
	v_mov_b64_e32 v[8:9], 0
	s_cbranch_vccnz .LBB47_2
; %bb.12:                               ;   in Loop: Header=BB47_4 Depth=1
	flat_load_b64 v[8:9], v[6:7]
	s_wait_loadcnt_dscnt 0x0
	v_mul_f64_e32 v[8:9], v[4:5], v[8:9]
	s_branch .LBB47_2
.LBB47_13:                              ;   in Loop: Header=BB47_4 Depth=1
	s_branch .LBB47_8
.LBB47_14:
	s_endpgm
	.section	.rodata,"a",@progbits
	.p2align	6, 0x0
	.amdhsa_kernel _ZL27rocblas_geam_inplace_deviceILi16ELi16EPKdPKS1_PKPdEv18rocblas_operation_iiT1_S8_T2_lllT3_llli
		.amdhsa_group_segment_fixed_size 0
		.amdhsa_private_segment_fixed_size 0
		.amdhsa_kernarg_size 100
		.amdhsa_user_sgpr_count 2
		.amdhsa_user_sgpr_dispatch_ptr 0
		.amdhsa_user_sgpr_queue_ptr 0
		.amdhsa_user_sgpr_kernarg_segment_ptr 1
		.amdhsa_user_sgpr_dispatch_id 0
		.amdhsa_user_sgpr_kernarg_preload_length 0
		.amdhsa_user_sgpr_kernarg_preload_offset 0
		.amdhsa_user_sgpr_private_segment_size 0
		.amdhsa_wavefront_size32 1
		.amdhsa_uses_dynamic_stack 0
		.amdhsa_enable_private_segment 0
		.amdhsa_system_sgpr_workgroup_id_x 1
		.amdhsa_system_sgpr_workgroup_id_y 0
		.amdhsa_system_sgpr_workgroup_id_z 1
		.amdhsa_system_sgpr_workgroup_info 0
		.amdhsa_system_vgpr_workitem_id 1
		.amdhsa_next_free_vgpr 14
		.amdhsa_next_free_sgpr 24
		.amdhsa_named_barrier_count 0
		.amdhsa_reserve_vcc 1
		.amdhsa_float_round_mode_32 0
		.amdhsa_float_round_mode_16_64 0
		.amdhsa_float_denorm_mode_32 3
		.amdhsa_float_denorm_mode_16_64 3
		.amdhsa_fp16_overflow 0
		.amdhsa_memory_ordered 1
		.amdhsa_forward_progress 1
		.amdhsa_inst_pref_size 7
		.amdhsa_round_robin_scheduling 0
		.amdhsa_exception_fp_ieee_invalid_op 0
		.amdhsa_exception_fp_denorm_src 0
		.amdhsa_exception_fp_ieee_div_zero 0
		.amdhsa_exception_fp_ieee_overflow 0
		.amdhsa_exception_fp_ieee_underflow 0
		.amdhsa_exception_fp_ieee_inexact 0
		.amdhsa_exception_int_div_zero 0
	.end_amdhsa_kernel
	.section	.text._ZL27rocblas_geam_inplace_deviceILi16ELi16EPKdPKS1_PKPdEv18rocblas_operation_iiT1_S8_T2_lllT3_llli,"axG",@progbits,_ZL27rocblas_geam_inplace_deviceILi16ELi16EPKdPKS1_PKPdEv18rocblas_operation_iiT1_S8_T2_lllT3_llli,comdat
.Lfunc_end47:
	.size	_ZL27rocblas_geam_inplace_deviceILi16ELi16EPKdPKS1_PKPdEv18rocblas_operation_iiT1_S8_T2_lllT3_llli, .Lfunc_end47-_ZL27rocblas_geam_inplace_deviceILi16ELi16EPKdPKS1_PKPdEv18rocblas_operation_iiT1_S8_T2_lllT3_llli
                                        ; -- End function
	.set _ZL27rocblas_geam_inplace_deviceILi16ELi16EPKdPKS1_PKPdEv18rocblas_operation_iiT1_S8_T2_lllT3_llli.num_vgpr, 14
	.set _ZL27rocblas_geam_inplace_deviceILi16ELi16EPKdPKS1_PKPdEv18rocblas_operation_iiT1_S8_T2_lllT3_llli.num_agpr, 0
	.set _ZL27rocblas_geam_inplace_deviceILi16ELi16EPKdPKS1_PKPdEv18rocblas_operation_iiT1_S8_T2_lllT3_llli.numbered_sgpr, 24
	.set _ZL27rocblas_geam_inplace_deviceILi16ELi16EPKdPKS1_PKPdEv18rocblas_operation_iiT1_S8_T2_lllT3_llli.num_named_barrier, 0
	.set _ZL27rocblas_geam_inplace_deviceILi16ELi16EPKdPKS1_PKPdEv18rocblas_operation_iiT1_S8_T2_lllT3_llli.private_seg_size, 0
	.set _ZL27rocblas_geam_inplace_deviceILi16ELi16EPKdPKS1_PKPdEv18rocblas_operation_iiT1_S8_T2_lllT3_llli.uses_vcc, 1
	.set _ZL27rocblas_geam_inplace_deviceILi16ELi16EPKdPKS1_PKPdEv18rocblas_operation_iiT1_S8_T2_lllT3_llli.uses_flat_scratch, 0
	.set _ZL27rocblas_geam_inplace_deviceILi16ELi16EPKdPKS1_PKPdEv18rocblas_operation_iiT1_S8_T2_lllT3_llli.has_dyn_sized_stack, 0
	.set _ZL27rocblas_geam_inplace_deviceILi16ELi16EPKdPKS1_PKPdEv18rocblas_operation_iiT1_S8_T2_lllT3_llli.has_recursion, 0
	.set _ZL27rocblas_geam_inplace_deviceILi16ELi16EPKdPKS1_PKPdEv18rocblas_operation_iiT1_S8_T2_lllT3_llli.has_indirect_call, 0
	.section	.AMDGPU.csdata,"",@progbits
; Kernel info:
; codeLenInByte = 800
; TotalNumSgprs: 26
; NumVgprs: 14
; ScratchSize: 0
; MemoryBound: 0
; FloatMode: 240
; IeeeMode: 1
; LDSByteSize: 0 bytes/workgroup (compile time only)
; SGPRBlocks: 0
; VGPRBlocks: 0
; NumSGPRsForWavesPerEU: 26
; NumVGPRsForWavesPerEU: 14
; NamedBarCnt: 0
; Occupancy: 16
; WaveLimiterHint : 1
; COMPUTE_PGM_RSRC2:SCRATCH_EN: 0
; COMPUTE_PGM_RSRC2:USER_SGPR: 2
; COMPUTE_PGM_RSRC2:TRAP_HANDLER: 0
; COMPUTE_PGM_RSRC2:TGID_X_EN: 1
; COMPUTE_PGM_RSRC2:TGID_Y_EN: 0
; COMPUTE_PGM_RSRC2:TGID_Z_EN: 1
; COMPUTE_PGM_RSRC2:TIDIG_COMP_CNT: 1
	.section	.text._ZL30rocblas_geam_1D_2matrix_deviceILi256EdPKPKdPKPdEvmT0_T1_llT2_lli,"axG",@progbits,_ZL30rocblas_geam_1D_2matrix_deviceILi256EdPKPKdPKPdEvmT0_T1_llT2_lli,comdat
	.globl	_ZL30rocblas_geam_1D_2matrix_deviceILi256EdPKPKdPKPdEvmT0_T1_llT2_lli ; -- Begin function _ZL30rocblas_geam_1D_2matrix_deviceILi256EdPKPKdPKPdEvmT0_T1_llT2_lli
	.p2align	8
	.type	_ZL30rocblas_geam_1D_2matrix_deviceILi256EdPKPKdPKPdEvmT0_T1_llT2_lli,@function
_ZL30rocblas_geam_1D_2matrix_deviceILi256EdPKPKdPKPdEvmT0_T1_llT2_lli: ; @_ZL30rocblas_geam_1D_2matrix_deviceILi256EdPKPKdPKPdEvmT0_T1_llT2_lli
; %bb.0:
	s_load_b32 s16, s[0:1], 0x40
	s_bfe_u32 s2, ttmp6, 0x40014
	s_lshr_b32 s3, ttmp7, 16
	s_add_co_i32 s2, s2, 1
	s_bfe_u32 s4, ttmp6, 0x40008
	s_mul_i32 s2, s3, s2
	s_getreg_b32 s17, hwreg(HW_REG_IB_STS2, 6, 4)
	s_add_co_i32 s4, s4, s2
	s_cmp_eq_u32 s17, 0
	s_cselect_b32 s2, s3, s4
	s_mov_b32 s3, 0
	s_wait_kmcnt 0x0
	s_cmp_ge_u32 s2, s16
	s_cbranch_scc1 .LBB48_8
; %bb.1:
	s_clause 0x2
	s_load_b32 s18, s[0:1], 0x54
	s_load_b128 s[12:15], s[0:1], 0x28
	s_load_b256 s[4:11], s[0:1], 0x0
	s_wait_xcnt 0x0
	s_bfe_u32 s0, ttmp6, 0x4000c
	s_and_b32 s1, ttmp6, 15
	s_add_co_i32 s0, s0, 1
	v_mov_b32_e32 v1, 0
	s_mul_i32 s0, ttmp9, s0
	s_delay_alu instid0(SALU_CYCLE_1)
	s_add_co_i32 s1, s1, s0
	s_wait_kmcnt 0x0
	s_and_b32 s18, s18, 0xffff
	s_cmp_eq_u32 s17, 0
	s_cselect_b32 s0, ttmp9, s1
	v_cmp_neq_f64_e64 s1, s[6:7], 0
	v_mad_nc_u64_u32 v[0:1], s18, s0, v[0:1]
	s_delay_alu instid0(VALU_DEP_1)
	v_cmp_gt_u64_e64 s0, s[4:5], v[0:1]
	s_lshl_b64 s[4:5], s[10:11], 3
	s_lshl_b64 s[10:11], s[14:15], 3
	s_branch .LBB48_5
.LBB48_2:                               ;   in Loop: Header=BB48_5 Depth=1
	s_lshl_b64 s[18:19], s[2:3], 3
	s_delay_alu instid0(SALU_CYCLE_1) | instskip(SKIP_4) | instid1(SALU_CYCLE_1)
	s_add_nc_u64 s[18:19], s[8:9], s[18:19]
	s_load_b64 s[18:19], s[18:19], 0x0
	s_wait_kmcnt 0x0
	s_wait_xcnt 0x0
	s_add_nc_u64 s[18:19], s[18:19], s[4:5]
	v_lshl_add_u64 v[2:3], v[0:1], 3, s[18:19]
	flat_load_b64 v[2:3], v[2:3]
	s_wait_loadcnt_dscnt 0x0
	s_wait_xcnt 0x0
	v_mul_f64_e32 v[2:3], s[6:7], v[2:3]
.LBB48_3:                               ;   in Loop: Header=BB48_5 Depth=1
	s_load_b64 s[18:19], s[12:13], s2 offset:0x0 scale_offset
	s_wait_kmcnt 0x0
	s_add_nc_u64 s[18:19], s[18:19], s[10:11]
	s_delay_alu instid0(SALU_CYCLE_1)
	v_lshl_add_u64 v[4:5], v[0:1], 3, s[18:19]
	flat_store_b64 v[4:5], v[2:3]
.LBB48_4:                               ;   in Loop: Header=BB48_5 Depth=1
	s_wait_xcnt 0x0
	s_or_b32 exec_lo, exec_lo, s14
	s_add_co_i32 s2, s2, 0x10000
	s_delay_alu instid0(SALU_CYCLE_1)
	s_cmp_lt_u32 s2, s16
	s_cbranch_scc0 .LBB48_8
.LBB48_5:                               ; =>This Inner Loop Header: Depth=1
	s_and_saveexec_b32 s14, s0
	s_cbranch_execz .LBB48_4
; %bb.6:                                ;   in Loop: Header=BB48_5 Depth=1
	s_and_not1_b32 vcc_lo, exec_lo, s1
	s_cbranch_vccz .LBB48_2
; %bb.7:                                ;   in Loop: Header=BB48_5 Depth=1
	v_mov_b64_e32 v[2:3], 0
	s_branch .LBB48_3
.LBB48_8:
	s_endpgm
	.section	.rodata,"a",@progbits
	.p2align	6, 0x0
	.amdhsa_kernel _ZL30rocblas_geam_1D_2matrix_deviceILi256EdPKPKdPKPdEvmT0_T1_llT2_lli
		.amdhsa_group_segment_fixed_size 0
		.amdhsa_private_segment_fixed_size 0
		.amdhsa_kernarg_size 328
		.amdhsa_user_sgpr_count 2
		.amdhsa_user_sgpr_dispatch_ptr 0
		.amdhsa_user_sgpr_queue_ptr 0
		.amdhsa_user_sgpr_kernarg_segment_ptr 1
		.amdhsa_user_sgpr_dispatch_id 0
		.amdhsa_user_sgpr_kernarg_preload_length 0
		.amdhsa_user_sgpr_kernarg_preload_offset 0
		.amdhsa_user_sgpr_private_segment_size 0
		.amdhsa_wavefront_size32 1
		.amdhsa_uses_dynamic_stack 0
		.amdhsa_enable_private_segment 0
		.amdhsa_system_sgpr_workgroup_id_x 1
		.amdhsa_system_sgpr_workgroup_id_y 0
		.amdhsa_system_sgpr_workgroup_id_z 1
		.amdhsa_system_sgpr_workgroup_info 0
		.amdhsa_system_vgpr_workitem_id 0
		.amdhsa_next_free_vgpr 6
		.amdhsa_next_free_sgpr 20
		.amdhsa_named_barrier_count 0
		.amdhsa_reserve_vcc 1
		.amdhsa_float_round_mode_32 0
		.amdhsa_float_round_mode_16_64 0
		.amdhsa_float_denorm_mode_32 3
		.amdhsa_float_denorm_mode_16_64 3
		.amdhsa_fp16_overflow 0
		.amdhsa_memory_ordered 1
		.amdhsa_forward_progress 1
		.amdhsa_inst_pref_size 3
		.amdhsa_round_robin_scheduling 0
		.amdhsa_exception_fp_ieee_invalid_op 0
		.amdhsa_exception_fp_denorm_src 0
		.amdhsa_exception_fp_ieee_div_zero 0
		.amdhsa_exception_fp_ieee_overflow 0
		.amdhsa_exception_fp_ieee_underflow 0
		.amdhsa_exception_fp_ieee_inexact 0
		.amdhsa_exception_int_div_zero 0
	.end_amdhsa_kernel
	.section	.text._ZL30rocblas_geam_1D_2matrix_deviceILi256EdPKPKdPKPdEvmT0_T1_llT2_lli,"axG",@progbits,_ZL30rocblas_geam_1D_2matrix_deviceILi256EdPKPKdPKPdEvmT0_T1_llT2_lli,comdat
.Lfunc_end48:
	.size	_ZL30rocblas_geam_1D_2matrix_deviceILi256EdPKPKdPKPdEvmT0_T1_llT2_lli, .Lfunc_end48-_ZL30rocblas_geam_1D_2matrix_deviceILi256EdPKPKdPKPdEvmT0_T1_llT2_lli
                                        ; -- End function
	.set _ZL30rocblas_geam_1D_2matrix_deviceILi256EdPKPKdPKPdEvmT0_T1_llT2_lli.num_vgpr, 6
	.set _ZL30rocblas_geam_1D_2matrix_deviceILi256EdPKPKdPKPdEvmT0_T1_llT2_lli.num_agpr, 0
	.set _ZL30rocblas_geam_1D_2matrix_deviceILi256EdPKPKdPKPdEvmT0_T1_llT2_lli.numbered_sgpr, 20
	.set _ZL30rocblas_geam_1D_2matrix_deviceILi256EdPKPKdPKPdEvmT0_T1_llT2_lli.num_named_barrier, 0
	.set _ZL30rocblas_geam_1D_2matrix_deviceILi256EdPKPKdPKPdEvmT0_T1_llT2_lli.private_seg_size, 0
	.set _ZL30rocblas_geam_1D_2matrix_deviceILi256EdPKPKdPKPdEvmT0_T1_llT2_lli.uses_vcc, 1
	.set _ZL30rocblas_geam_1D_2matrix_deviceILi256EdPKPKdPKPdEvmT0_T1_llT2_lli.uses_flat_scratch, 0
	.set _ZL30rocblas_geam_1D_2matrix_deviceILi256EdPKPKdPKPdEvmT0_T1_llT2_lli.has_dyn_sized_stack, 0
	.set _ZL30rocblas_geam_1D_2matrix_deviceILi256EdPKPKdPKPdEvmT0_T1_llT2_lli.has_recursion, 0
	.set _ZL30rocblas_geam_1D_2matrix_deviceILi256EdPKPKdPKPdEvmT0_T1_llT2_lli.has_indirect_call, 0
	.section	.AMDGPU.csdata,"",@progbits
; Kernel info:
; codeLenInByte = 352
; TotalNumSgprs: 22
; NumVgprs: 6
; ScratchSize: 0
; MemoryBound: 0
; FloatMode: 240
; IeeeMode: 1
; LDSByteSize: 0 bytes/workgroup (compile time only)
; SGPRBlocks: 0
; VGPRBlocks: 0
; NumSGPRsForWavesPerEU: 22
; NumVGPRsForWavesPerEU: 6
; NamedBarCnt: 0
; Occupancy: 16
; WaveLimiterHint : 1
; COMPUTE_PGM_RSRC2:SCRATCH_EN: 0
; COMPUTE_PGM_RSRC2:USER_SGPR: 2
; COMPUTE_PGM_RSRC2:TRAP_HANDLER: 0
; COMPUTE_PGM_RSRC2:TGID_X_EN: 1
; COMPUTE_PGM_RSRC2:TGID_Y_EN: 0
; COMPUTE_PGM_RSRC2:TGID_Z_EN: 1
; COMPUTE_PGM_RSRC2:TIDIG_COMP_CNT: 0
	.section	.text._ZL27rocblas_geam_2matrix_deviceILi16ELi16EdPKPKdPKPdEv18rocblas_operation_iiT1_T2_lllT3_llli,"axG",@progbits,_ZL27rocblas_geam_2matrix_deviceILi16ELi16EdPKPKdPKPdEv18rocblas_operation_iiT1_T2_lllT3_llli,comdat
	.globl	_ZL27rocblas_geam_2matrix_deviceILi16ELi16EdPKPKdPKPdEv18rocblas_operation_iiT1_T2_lllT3_llli ; -- Begin function _ZL27rocblas_geam_2matrix_deviceILi16ELi16EdPKPKdPKPdEv18rocblas_operation_iiT1_T2_lllT3_llli
	.p2align	8
	.type	_ZL27rocblas_geam_2matrix_deviceILi16ELi16EdPKPKdPKPdEv18rocblas_operation_iiT1_T2_lllT3_llli,@function
_ZL27rocblas_geam_2matrix_deviceILi16ELi16EdPKPKdPKPdEv18rocblas_operation_iiT1_T2_lllT3_llli: ; @_ZL27rocblas_geam_2matrix_deviceILi16ELi16EdPKPKdPKPdEv18rocblas_operation_iiT1_T2_lllT3_llli
; %bb.0:
	s_load_b32 s19, s[0:1], 0x58
	s_bfe_u32 s2, ttmp6, 0x40014
	s_lshr_b32 s3, ttmp7, 16
	s_add_co_i32 s2, s2, 1
	s_bfe_u32 s5, ttmp6, 0x40008
	s_mul_i32 s2, s3, s2
	s_getreg_b32 s4, hwreg(HW_REG_IB_STS2, 6, 4)
	s_add_co_i32 s5, s5, s2
	s_cmp_eq_u32 s4, 0
	s_cselect_b32 s2, s3, s5
	s_mov_b32 s3, 0
	s_wait_kmcnt 0x0
	s_cmp_ge_u32 s2, s19
	s_cbranch_scc1 .LBB49_8
; %bb.1:
	s_load_b96 s[16:18], s[0:1], 0x0
	s_bfe_u32 s8, ttmp6, 0x4000c
	s_and_b32 s7, ttmp6, 15
	s_add_co_i32 s8, s8, 1
	s_delay_alu instid0(SALU_CYCLE_1) | instskip(NEXT) | instid1(SALU_CYCLE_1)
	s_mul_i32 s8, ttmp9, s8
	s_add_co_i32 s7, s7, s8
	s_wait_kmcnt 0x0
	s_add_co_i32 s5, s17, -1
	s_delay_alu instid0(SALU_CYCLE_1) | instskip(NEXT) | instid1(SALU_CYCLE_1)
	s_ashr_i32 s6, s5, 31
	s_lshr_b32 s6, s6, 28
	s_delay_alu instid0(SALU_CYCLE_1) | instskip(NEXT) | instid1(SALU_CYCLE_1)
	s_add_co_i32 s5, s5, s6
	s_ashr_i32 s5, s5, 4
	s_delay_alu instid0(SALU_CYCLE_1) | instskip(SKIP_2) | instid1(SALU_CYCLE_3)
	s_add_co_i32 s12, s5, 1
	s_not_b32 s5, s5
	s_cvt_f32_u32 s6, s12
	v_rcp_iflag_f32_e32 v1, s6
	v_nop
	s_delay_alu instid0(TRANS32_DEP_1) | instskip(SKIP_3) | instid1(SALU_CYCLE_3)
	v_readfirstlane_b32 s6, v1
	v_bfe_u32 v1, v0, 10, 10
	v_and_b32_e32 v0, 0x3ff, v0
	s_mul_f32 s6, s6, 0x4f7ffffe
	s_cvt_u32_f32 s6, s6
	s_delay_alu instid0(SALU_CYCLE_3) | instskip(NEXT) | instid1(SALU_CYCLE_1)
	s_mul_i32 s5, s5, s6
	s_mul_hi_u32 s5, s6, s5
	s_delay_alu instid0(SALU_CYCLE_1) | instskip(SKIP_2) | instid1(SALU_CYCLE_1)
	s_add_co_i32 s6, s6, s5
	s_cmp_eq_u32 s4, 0
	s_cselect_b32 s14, ttmp9, s7
	s_mul_hi_u32 s13, s14, s6
	s_delay_alu instid0(SALU_CYCLE_1)
	s_mul_i32 s4, s13, s12
	s_add_co_i32 s20, s13, 1
	s_sub_co_i32 s15, s14, s4
	s_load_b256 s[4:11], s[0:1], 0x10
	s_sub_co_i32 s21, s15, s12
	s_cmp_ge_u32 s15, s12
	s_cselect_b32 s13, s20, s13
	s_cselect_b32 s15, s21, s15
	s_add_co_i32 s20, s13, 1
	s_cmp_ge_u32 s15, s12
	s_cselect_b32 s15, s20, s13
	s_delay_alu instid0(SALU_CYCLE_1) | instskip(SKIP_4) | instid1(VALU_DEP_2)
	s_mul_i32 s20, s15, s12
	v_lshl_add_u32 v4, s15, 4, v1
	s_sub_co_i32 s14, s14, s20
	s_load_b64 s[12:13], s[0:1], 0x48
	v_lshl_add_u32 v0, s14, 4, v0
	v_ashrrev_i32_e32 v5, 31, v4
	v_cmp_gt_i32_e32 vcc_lo, s18, v4
	s_delay_alu instid0(VALU_DEP_3) | instskip(SKIP_1) | instid1(VALU_DEP_3)
	v_ashrrev_i32_e32 v1, 31, v0
	s_wait_kmcnt 0x0
	v_mad_nc_u64_u32 v[6:7], s10, v0, v[4:5]
	s_delay_alu instid0(VALU_DEP_2) | instskip(NEXT) | instid1(VALU_DEP_2)
	v_mad_nc_u64_u32 v[8:9], s10, v4, v[0:1]
	v_mad_u32 v7, s11, v0, v7
	v_mul_u64_e32 v[2:3], s[12:13], v[4:5]
	s_load_b128 s[12:15], s[0:1], 0x38
	s_delay_alu instid0(VALU_DEP_3) | instskip(SKIP_4) | instid1(VALU_DEP_4)
	v_mad_u32 v9, s11, v4, v9
	v_cmp_neq_f64_e64 s11, s[4:5], 0
	s_wait_xcnt 0x0
	v_cmp_gt_i32_e64 s0, s17, v0
	v_mad_u32 v7, s10, v1, v7
	v_mad_u32 v5, s10, v5, v9
	s_and_b32 s10, s0, vcc_lo
	s_cmp_eq_u32 s16, 0x6f
	s_cselect_b32 vcc_lo, -1, 0
	s_lshl_b64 s[0:1], s[8:9], 3
	v_cndmask_b32_e32 v4, v6, v8, vcc_lo
	s_wait_kmcnt 0x0
	s_lshl_b64 s[8:9], s[14:15], 3
	s_delay_alu instid0(VALU_DEP_2)
	v_cndmask_b32_e32 v5, v7, v5, vcc_lo
	s_branch .LBB49_5
.LBB49_2:                               ;   in Loop: Header=BB49_5 Depth=1
	s_lshl_b64 s[16:17], s[2:3], 3
	s_delay_alu instid0(SALU_CYCLE_1) | instskip(SKIP_4) | instid1(SALU_CYCLE_1)
	s_add_nc_u64 s[16:17], s[6:7], s[16:17]
	s_load_b64 s[16:17], s[16:17], 0x0
	s_wait_kmcnt 0x0
	s_wait_xcnt 0x0
	s_add_nc_u64 s[16:17], s[16:17], s[0:1]
	v_lshl_add_u64 v[6:7], v[4:5], 3, s[16:17]
	flat_load_b64 v[6:7], v[6:7]
	s_wait_loadcnt_dscnt 0x0
	s_wait_xcnt 0x0
	v_mul_f64_e32 v[6:7], s[4:5], v[6:7]
.LBB49_3:                               ;   in Loop: Header=BB49_5 Depth=1
	s_load_b64 s[16:17], s[12:13], s2 offset:0x0 scale_offset
	s_wait_kmcnt 0x0
	s_add_nc_u64 s[16:17], s[16:17], s[8:9]
	s_delay_alu instid0(SALU_CYCLE_1) | instskip(NEXT) | instid1(VALU_DEP_1)
	v_lshl_add_u64 v[8:9], v[2:3], 3, s[16:17]
	v_lshl_add_u64 v[8:9], v[0:1], 3, v[8:9]
	flat_store_b64 v[8:9], v[6:7]
.LBB49_4:                               ;   in Loop: Header=BB49_5 Depth=1
	s_wait_xcnt 0x0
	s_or_b32 exec_lo, exec_lo, s14
	s_add_co_i32 s2, s2, 0x10000
	s_delay_alu instid0(SALU_CYCLE_1)
	s_cmp_lt_u32 s2, s19
	s_cbranch_scc0 .LBB49_8
.LBB49_5:                               ; =>This Inner Loop Header: Depth=1
	s_and_saveexec_b32 s14, s10
	s_cbranch_execz .LBB49_4
; %bb.6:                                ;   in Loop: Header=BB49_5 Depth=1
	s_and_not1_b32 vcc_lo, exec_lo, s11
	s_cbranch_vccz .LBB49_2
; %bb.7:                                ;   in Loop: Header=BB49_5 Depth=1
	v_mov_b64_e32 v[6:7], 0
	s_branch .LBB49_3
.LBB49_8:
	s_endpgm
	.section	.rodata,"a",@progbits
	.p2align	6, 0x0
	.amdhsa_kernel _ZL27rocblas_geam_2matrix_deviceILi16ELi16EdPKPKdPKPdEv18rocblas_operation_iiT1_T2_lllT3_llli
		.amdhsa_group_segment_fixed_size 0
		.amdhsa_private_segment_fixed_size 0
		.amdhsa_kernarg_size 92
		.amdhsa_user_sgpr_count 2
		.amdhsa_user_sgpr_dispatch_ptr 0
		.amdhsa_user_sgpr_queue_ptr 0
		.amdhsa_user_sgpr_kernarg_segment_ptr 1
		.amdhsa_user_sgpr_dispatch_id 0
		.amdhsa_user_sgpr_kernarg_preload_length 0
		.amdhsa_user_sgpr_kernarg_preload_offset 0
		.amdhsa_user_sgpr_private_segment_size 0
		.amdhsa_wavefront_size32 1
		.amdhsa_uses_dynamic_stack 0
		.amdhsa_enable_private_segment 0
		.amdhsa_system_sgpr_workgroup_id_x 1
		.amdhsa_system_sgpr_workgroup_id_y 0
		.amdhsa_system_sgpr_workgroup_id_z 1
		.amdhsa_system_sgpr_workgroup_info 0
		.amdhsa_system_vgpr_workitem_id 1
		.amdhsa_next_free_vgpr 10
		.amdhsa_next_free_sgpr 22
		.amdhsa_named_barrier_count 0
		.amdhsa_reserve_vcc 1
		.amdhsa_float_round_mode_32 0
		.amdhsa_float_round_mode_16_64 0
		.amdhsa_float_denorm_mode_32 3
		.amdhsa_float_denorm_mode_16_64 3
		.amdhsa_fp16_overflow 0
		.amdhsa_memory_ordered 1
		.amdhsa_forward_progress 1
		.amdhsa_inst_pref_size 5
		.amdhsa_round_robin_scheduling 0
		.amdhsa_exception_fp_ieee_invalid_op 0
		.amdhsa_exception_fp_denorm_src 0
		.amdhsa_exception_fp_ieee_div_zero 0
		.amdhsa_exception_fp_ieee_overflow 0
		.amdhsa_exception_fp_ieee_underflow 0
		.amdhsa_exception_fp_ieee_inexact 0
		.amdhsa_exception_int_div_zero 0
	.end_amdhsa_kernel
	.section	.text._ZL27rocblas_geam_2matrix_deviceILi16ELi16EdPKPKdPKPdEv18rocblas_operation_iiT1_T2_lllT3_llli,"axG",@progbits,_ZL27rocblas_geam_2matrix_deviceILi16ELi16EdPKPKdPKPdEv18rocblas_operation_iiT1_T2_lllT3_llli,comdat
.Lfunc_end49:
	.size	_ZL27rocblas_geam_2matrix_deviceILi16ELi16EdPKPKdPKPdEv18rocblas_operation_iiT1_T2_lllT3_llli, .Lfunc_end49-_ZL27rocblas_geam_2matrix_deviceILi16ELi16EdPKPKdPKPdEv18rocblas_operation_iiT1_T2_lllT3_llli
                                        ; -- End function
	.set _ZL27rocblas_geam_2matrix_deviceILi16ELi16EdPKPKdPKPdEv18rocblas_operation_iiT1_T2_lllT3_llli.num_vgpr, 10
	.set _ZL27rocblas_geam_2matrix_deviceILi16ELi16EdPKPKdPKPdEv18rocblas_operation_iiT1_T2_lllT3_llli.num_agpr, 0
	.set _ZL27rocblas_geam_2matrix_deviceILi16ELi16EdPKPKdPKPdEv18rocblas_operation_iiT1_T2_lllT3_llli.numbered_sgpr, 22
	.set _ZL27rocblas_geam_2matrix_deviceILi16ELi16EdPKPKdPKPdEv18rocblas_operation_iiT1_T2_lllT3_llli.num_named_barrier, 0
	.set _ZL27rocblas_geam_2matrix_deviceILi16ELi16EdPKPKdPKPdEv18rocblas_operation_iiT1_T2_lllT3_llli.private_seg_size, 0
	.set _ZL27rocblas_geam_2matrix_deviceILi16ELi16EdPKPKdPKPdEv18rocblas_operation_iiT1_T2_lllT3_llli.uses_vcc, 1
	.set _ZL27rocblas_geam_2matrix_deviceILi16ELi16EdPKPKdPKPdEv18rocblas_operation_iiT1_T2_lllT3_llli.uses_flat_scratch, 0
	.set _ZL27rocblas_geam_2matrix_deviceILi16ELi16EdPKPKdPKPdEv18rocblas_operation_iiT1_T2_lllT3_llli.has_dyn_sized_stack, 0
	.set _ZL27rocblas_geam_2matrix_deviceILi16ELi16EdPKPKdPKPdEv18rocblas_operation_iiT1_T2_lllT3_llli.has_recursion, 0
	.set _ZL27rocblas_geam_2matrix_deviceILi16ELi16EdPKPKdPKPdEv18rocblas_operation_iiT1_T2_lllT3_llli.has_indirect_call, 0
	.section	.AMDGPU.csdata,"",@progbits
; Kernel info:
; codeLenInByte = 636
; TotalNumSgprs: 24
; NumVgprs: 10
; ScratchSize: 0
; MemoryBound: 0
; FloatMode: 240
; IeeeMode: 1
; LDSByteSize: 0 bytes/workgroup (compile time only)
; SGPRBlocks: 0
; VGPRBlocks: 0
; NumSGPRsForWavesPerEU: 24
; NumVGPRsForWavesPerEU: 10
; NamedBarCnt: 0
; Occupancy: 16
; WaveLimiterHint : 1
; COMPUTE_PGM_RSRC2:SCRATCH_EN: 0
; COMPUTE_PGM_RSRC2:USER_SGPR: 2
; COMPUTE_PGM_RSRC2:TRAP_HANDLER: 0
; COMPUTE_PGM_RSRC2:TGID_X_EN: 1
; COMPUTE_PGM_RSRC2:TGID_Y_EN: 0
; COMPUTE_PGM_RSRC2:TGID_Z_EN: 1
; COMPUTE_PGM_RSRC2:TIDIG_COMP_CNT: 1
	.section	.text._ZL22rocblas_geam_1D_deviceILi256EdPKPKdPKPdEvmT0_T1_llS7_S8_llT2_lli,"axG",@progbits,_ZL22rocblas_geam_1D_deviceILi256EdPKPKdPKPdEvmT0_T1_llS7_S8_llT2_lli,comdat
	.globl	_ZL22rocblas_geam_1D_deviceILi256EdPKPKdPKPdEvmT0_T1_llS7_S8_llT2_lli ; -- Begin function _ZL22rocblas_geam_1D_deviceILi256EdPKPKdPKPdEvmT0_T1_llS7_S8_llT2_lli
	.p2align	8
	.type	_ZL22rocblas_geam_1D_deviceILi256EdPKPKdPKPdEvmT0_T1_llS7_S8_llT2_lli,@function
_ZL22rocblas_geam_1D_deviceILi256EdPKPKdPKPdEvmT0_T1_llS7_S8_llT2_lli: ; @_ZL22rocblas_geam_1D_deviceILi256EdPKPKdPKPdEvmT0_T1_llS7_S8_llT2_lli
; %bb.0:
	s_load_b32 s22, s[0:1], 0x60
	s_bfe_u32 s2, ttmp6, 0x40014
	s_lshr_b32 s3, ttmp7, 16
	s_add_co_i32 s2, s2, 1
	s_bfe_u32 s4, ttmp6, 0x40008
	s_mul_i32 s2, s3, s2
	s_getreg_b32 s20, hwreg(HW_REG_IB_STS2, 6, 4)
	s_add_co_i32 s4, s4, s2
	s_cmp_eq_u32 s20, 0
	s_cselect_b32 s2, s3, s4
	s_mov_b32 s3, 0
	s_wait_kmcnt 0x0
	s_cmp_ge_u32 s2, s22
	s_cbranch_scc1 .LBB50_14
; %bb.1:
	s_clause 0x3
	s_load_b256 s[4:11], s[0:1], 0x0
	s_load_b128 s[12:15], s[0:1], 0x28
	s_load_b32 s21, s[0:1], 0x74
	s_load_b64 s[24:25], s[0:1], 0x38
	s_bfe_u32 s27, ttmp6, 0x4000c
	s_load_b128 s[16:19], s[0:1], 0x48
	s_add_co_i32 s27, s27, 1
	s_wait_xcnt 0x0
	s_and_b32 s0, ttmp6, 15
	s_mul_i32 s1, ttmp9, s27
	v_mov_b32_e32 v1, 0
	s_add_co_i32 s0, s0, s1
	s_wait_kmcnt 0x0
	v_cmp_neq_f64_e64 s23, s[6:7], 0
	v_cmp_neq_f64_e64 s26, s[12:13], 0
	s_and_b32 s1, s21, 0xffff
	s_cmp_eq_u32 s20, 0
	s_cselect_b32 s0, ttmp9, s0
	s_lshl_b64 s[18:19], s[18:19], 3
	v_mad_nc_u64_u32 v[0:1], s1, s0, v[0:1]
	s_delay_alu instid0(VALU_DEP_1)
	v_cmp_gt_u64_e64 s0, s[4:5], v[0:1]
	s_lshl_b64 s[4:5], s[10:11], 3
	s_lshl_b64 s[10:11], s[24:25], 3
	v_cndmask_b32_e64 v6, 0, 1, s23
	v_cndmask_b32_e64 v7, 0, 1, s26
	s_or_b32 s1, s23, s26
	s_branch .LBB50_5
.LBB50_2:                               ;   in Loop: Header=BB50_5 Depth=1
	s_delay_alu instid0(VALU_DEP_1)
	v_add_f64_e32 v[2:3], v[4:5], v[2:3]
.LBB50_3:                               ;   in Loop: Header=BB50_5 Depth=1
	s_load_b64 s[20:21], s[16:17], s2 offset:0x0 scale_offset
	s_wait_kmcnt 0x0
	s_add_nc_u64 s[20:21], s[20:21], s[18:19]
	s_delay_alu instid0(SALU_CYCLE_1)
	v_lshl_add_u64 v[4:5], v[0:1], 3, s[20:21]
	flat_store_b64 v[4:5], v[2:3]
.LBB50_4:                               ;   in Loop: Header=BB50_5 Depth=1
	s_wait_xcnt 0x0
	s_or_b32 exec_lo, exec_lo, s23
	s_add_co_i32 s2, s2, 0x10000
	s_delay_alu instid0(SALU_CYCLE_1)
	s_cmp_lt_u32 s2, s22
	s_cbranch_scc0 .LBB50_14
.LBB50_5:                               ; =>This Inner Loop Header: Depth=1
	s_and_saveexec_b32 s23, s0
	s_cbranch_execz .LBB50_4
; %bb.6:                                ;   in Loop: Header=BB50_5 Depth=1
	v_mov_b64_e32 v[2:3], 0
	s_and_not1_b32 vcc_lo, exec_lo, s1
	s_cbranch_vccnz .LBB50_3
; %bb.7:                                ;   in Loop: Header=BB50_5 Depth=1
	v_cmp_ne_u32_e32 vcc_lo, 1, v6
	s_cbranch_vccnz .LBB50_9
; %bb.8:                                ;   in Loop: Header=BB50_5 Depth=1
	s_lshl_b64 s[20:21], s[2:3], 3
	s_delay_alu instid0(SALU_CYCLE_1)
	s_add_nc_u64 s[20:21], s[8:9], s[20:21]
	s_load_b64 s[20:21], s[20:21], 0x0
	s_wait_kmcnt 0x0
	s_wait_xcnt 0x0
	s_add_nc_u64 s[20:21], s[20:21], s[4:5]
	s_branch .LBB50_10
.LBB50_9:                               ;   in Loop: Header=BB50_5 Depth=1
	s_mov_b64 s[20:21], 0
.LBB50_10:                              ;   in Loop: Header=BB50_5 Depth=1
	v_mov_b64_e32 v[2:3], 0
	v_cmp_ne_u32_e32 vcc_lo, 1, v7
	v_mov_b64_e32 v[4:5], 0
	s_cbranch_vccnz .LBB50_12
; %bb.11:                               ;   in Loop: Header=BB50_5 Depth=1
	s_lshl_b64 s[24:25], s[2:3], 3
	s_delay_alu instid0(SALU_CYCLE_1) | instskip(SKIP_4) | instid1(SALU_CYCLE_1)
	s_add_nc_u64 s[24:25], s[14:15], s[24:25]
	s_load_b64 s[24:25], s[24:25], 0x0
	s_wait_kmcnt 0x0
	s_wait_xcnt 0x0
	s_add_nc_u64 s[24:25], s[24:25], s[10:11]
	v_lshl_add_u64 v[4:5], v[0:1], 3, s[24:25]
	flat_load_b64 v[4:5], v[4:5]
	s_wait_loadcnt_dscnt 0x0
	s_wait_xcnt 0x0
	v_mul_f64_e32 v[4:5], s[12:13], v[4:5]
.LBB50_12:                              ;   in Loop: Header=BB50_5 Depth=1
	v_cmp_ne_u32_e32 vcc_lo, 1, v6
	s_cbranch_vccnz .LBB50_2
; %bb.13:                               ;   in Loop: Header=BB50_5 Depth=1
	v_lshl_add_u64 v[2:3], v[0:1], 3, s[20:21]
	flat_load_b64 v[2:3], v[2:3]
	s_wait_loadcnt_dscnt 0x0
	s_wait_xcnt 0x0
	v_mul_f64_e32 v[2:3], s[6:7], v[2:3]
	s_branch .LBB50_2
.LBB50_14:
	s_endpgm
	.section	.rodata,"a",@progbits
	.p2align	6, 0x0
	.amdhsa_kernel _ZL22rocblas_geam_1D_deviceILi256EdPKPKdPKPdEvmT0_T1_llS7_S8_llT2_lli
		.amdhsa_group_segment_fixed_size 0
		.amdhsa_private_segment_fixed_size 0
		.amdhsa_kernarg_size 360
		.amdhsa_user_sgpr_count 2
		.amdhsa_user_sgpr_dispatch_ptr 0
		.amdhsa_user_sgpr_queue_ptr 0
		.amdhsa_user_sgpr_kernarg_segment_ptr 1
		.amdhsa_user_sgpr_dispatch_id 0
		.amdhsa_user_sgpr_kernarg_preload_length 0
		.amdhsa_user_sgpr_kernarg_preload_offset 0
		.amdhsa_user_sgpr_private_segment_size 0
		.amdhsa_wavefront_size32 1
		.amdhsa_uses_dynamic_stack 0
		.amdhsa_enable_private_segment 0
		.amdhsa_system_sgpr_workgroup_id_x 1
		.amdhsa_system_sgpr_workgroup_id_y 0
		.amdhsa_system_sgpr_workgroup_id_z 1
		.amdhsa_system_sgpr_workgroup_info 0
		.amdhsa_system_vgpr_workitem_id 0
		.amdhsa_next_free_vgpr 8
		.amdhsa_next_free_sgpr 28
		.amdhsa_named_barrier_count 0
		.amdhsa_reserve_vcc 1
		.amdhsa_float_round_mode_32 0
		.amdhsa_float_round_mode_16_64 0
		.amdhsa_float_denorm_mode_32 3
		.amdhsa_float_denorm_mode_16_64 3
		.amdhsa_fp16_overflow 0
		.amdhsa_memory_ordered 1
		.amdhsa_forward_progress 1
		.amdhsa_inst_pref_size 4
		.amdhsa_round_robin_scheduling 0
		.amdhsa_exception_fp_ieee_invalid_op 0
		.amdhsa_exception_fp_denorm_src 0
		.amdhsa_exception_fp_ieee_div_zero 0
		.amdhsa_exception_fp_ieee_overflow 0
		.amdhsa_exception_fp_ieee_underflow 0
		.amdhsa_exception_fp_ieee_inexact 0
		.amdhsa_exception_int_div_zero 0
	.end_amdhsa_kernel
	.section	.text._ZL22rocblas_geam_1D_deviceILi256EdPKPKdPKPdEvmT0_T1_llS7_S8_llT2_lli,"axG",@progbits,_ZL22rocblas_geam_1D_deviceILi256EdPKPKdPKPdEvmT0_T1_llS7_S8_llT2_lli,comdat
.Lfunc_end50:
	.size	_ZL22rocblas_geam_1D_deviceILi256EdPKPKdPKPdEvmT0_T1_llS7_S8_llT2_lli, .Lfunc_end50-_ZL22rocblas_geam_1D_deviceILi256EdPKPKdPKPdEvmT0_T1_llS7_S8_llT2_lli
                                        ; -- End function
	.set _ZL22rocblas_geam_1D_deviceILi256EdPKPKdPKPdEvmT0_T1_llS7_S8_llT2_lli.num_vgpr, 8
	.set _ZL22rocblas_geam_1D_deviceILi256EdPKPKdPKPdEvmT0_T1_llS7_S8_llT2_lli.num_agpr, 0
	.set _ZL22rocblas_geam_1D_deviceILi256EdPKPKdPKPdEvmT0_T1_llS7_S8_llT2_lli.numbered_sgpr, 28
	.set _ZL22rocblas_geam_1D_deviceILi256EdPKPKdPKPdEvmT0_T1_llS7_S8_llT2_lli.num_named_barrier, 0
	.set _ZL22rocblas_geam_1D_deviceILi256EdPKPKdPKPdEvmT0_T1_llS7_S8_llT2_lli.private_seg_size, 0
	.set _ZL22rocblas_geam_1D_deviceILi256EdPKPKdPKPdEvmT0_T1_llS7_S8_llT2_lli.uses_vcc, 1
	.set _ZL22rocblas_geam_1D_deviceILi256EdPKPKdPKPdEvmT0_T1_llS7_S8_llT2_lli.uses_flat_scratch, 0
	.set _ZL22rocblas_geam_1D_deviceILi256EdPKPKdPKPdEvmT0_T1_llS7_S8_llT2_lli.has_dyn_sized_stack, 0
	.set _ZL22rocblas_geam_1D_deviceILi256EdPKPKdPKPdEvmT0_T1_llS7_S8_llT2_lli.has_recursion, 0
	.set _ZL22rocblas_geam_1D_deviceILi256EdPKPKdPKPdEvmT0_T1_llS7_S8_llT2_lli.has_indirect_call, 0
	.section	.AMDGPU.csdata,"",@progbits
; Kernel info:
; codeLenInByte = 508
; TotalNumSgprs: 30
; NumVgprs: 8
; ScratchSize: 0
; MemoryBound: 0
; FloatMode: 240
; IeeeMode: 1
; LDSByteSize: 0 bytes/workgroup (compile time only)
; SGPRBlocks: 0
; VGPRBlocks: 0
; NumSGPRsForWavesPerEU: 30
; NumVGPRsForWavesPerEU: 8
; NamedBarCnt: 0
; Occupancy: 16
; WaveLimiterHint : 1
; COMPUTE_PGM_RSRC2:SCRATCH_EN: 0
; COMPUTE_PGM_RSRC2:USER_SGPR: 2
; COMPUTE_PGM_RSRC2:TRAP_HANDLER: 0
; COMPUTE_PGM_RSRC2:TGID_X_EN: 1
; COMPUTE_PGM_RSRC2:TGID_Y_EN: 0
; COMPUTE_PGM_RSRC2:TGID_Z_EN: 1
; COMPUTE_PGM_RSRC2:TIDIG_COMP_CNT: 0
	.section	.text._ZL22rocblas_geam_1D_deviceILi256EPKdPKS1_PKPdEvmT0_T1_llS7_S8_llT2_lli,"axG",@progbits,_ZL22rocblas_geam_1D_deviceILi256EPKdPKS1_PKPdEvmT0_T1_llS7_S8_llT2_lli,comdat
	.globl	_ZL22rocblas_geam_1D_deviceILi256EPKdPKS1_PKPdEvmT0_T1_llS7_S8_llT2_lli ; -- Begin function _ZL22rocblas_geam_1D_deviceILi256EPKdPKS1_PKPdEvmT0_T1_llS7_S8_llT2_lli
	.p2align	8
	.type	_ZL22rocblas_geam_1D_deviceILi256EPKdPKS1_PKPdEvmT0_T1_llS7_S8_llT2_lli,@function
_ZL22rocblas_geam_1D_deviceILi256EPKdPKS1_PKPdEvmT0_T1_llS7_S8_llT2_lli: ; @_ZL22rocblas_geam_1D_deviceILi256EPKdPKS1_PKPdEvmT0_T1_llS7_S8_llT2_lli
; %bb.0:
	s_load_b32 s22, s[0:1], 0x60
	s_bfe_u32 s2, ttmp6, 0x40014
	s_lshr_b32 s3, ttmp7, 16
	s_add_co_i32 s2, s2, 1
	s_bfe_u32 s5, ttmp6, 0x40008
	s_mul_i32 s4, s3, s2
	s_getreg_b32 s2, hwreg(HW_REG_IB_STS2, 6, 4)
	s_add_co_i32 s5, s5, s4
	s_cmp_eq_u32 s2, 0
	s_mov_b32 s21, 0
	s_cselect_b32 s20, s3, s5
	s_wait_kmcnt 0x0
	s_cmp_ge_u32 s20, s22
	s_cbranch_scc1 .LBB51_14
; %bb.1:
	s_clause 0x3
	s_load_b32 s3, s[0:1], 0x74
	s_load_b128 s[12:15], s[0:1], 0x48
	s_load_b256 s[4:11], s[0:1], 0x0
	s_load_b64 s[24:25], s[0:1], 0x38
	s_bfe_u32 s16, ttmp6, 0x4000c
	s_and_b32 s17, ttmp6, 15
	s_add_co_i32 s16, s16, 1
	v_mov_b32_e32 v1, 0
	s_mul_i32 s16, ttmp9, s16
	s_delay_alu instid0(SALU_CYCLE_1)
	s_add_co_i32 s23, s17, s16
	s_load_b128 s[16:19], s[0:1], 0x28
	s_wait_kmcnt 0x0
	s_and_b32 s3, s3, 0xffff
	s_cmp_eq_u32 s2, 0
	s_cselect_b32 s0, ttmp9, s23
	s_lshl_b64 s[14:15], s[14:15], 3
	v_mad_nc_u64_u32 v[2:3], s3, s0, v[0:1]
	s_delay_alu instid0(VALU_DEP_1)
	v_cmp_gt_u64_e64 s0, s[4:5], v[2:3]
	s_lshl_b64 s[4:5], s[10:11], 3
	s_lshl_b64 s[10:11], s[24:25], 3
	s_branch .LBB51_5
.LBB51_2:                               ;   in Loop: Header=BB51_5 Depth=1
	s_delay_alu instid0(VALU_DEP_1)
	v_add_f64_e32 v[8:9], v[10:11], v[8:9]
.LBB51_3:                               ;   in Loop: Header=BB51_5 Depth=1
	s_load_b64 s[2:3], s[12:13], s20 offset:0x0 scale_offset
	s_wait_kmcnt 0x0
	s_add_nc_u64 s[2:3], s[2:3], s[14:15]
	s_delay_alu instid0(SALU_CYCLE_1)
	v_lshl_add_u64 v[4:5], v[2:3], 3, s[2:3]
	flat_store_b64 v[4:5], v[8:9]
.LBB51_4:                               ;   in Loop: Header=BB51_5 Depth=1
	s_wait_xcnt 0x0
	s_or_b32 exec_lo, exec_lo, s23
	s_add_co_i32 s20, s20, 0x10000
	s_delay_alu instid0(SALU_CYCLE_1)
	s_cmp_lt_u32 s20, s22
	s_cbranch_scc0 .LBB51_14
.LBB51_5:                               ; =>This Inner Loop Header: Depth=1
	s_and_saveexec_b32 s23, s0
	s_cbranch_execz .LBB51_4
; %bb.6:                                ;   in Loop: Header=BB51_5 Depth=1
	s_clause 0x1
	global_load_b64 v[4:5], v1, s[6:7]
	global_load_b64 v[6:7], v1, s[16:17]
	v_mov_b64_e32 v[8:9], 0
	s_wait_loadcnt 0x1
	v_cmp_eq_f64_e64 s2, 0, v[4:5]
	s_wait_loadcnt 0x0
	v_cmp_eq_f64_e32 vcc_lo, 0, v[6:7]
	s_and_b32 s1, s2, vcc_lo
	s_delay_alu instid0(SALU_CYCLE_1)
	s_and_b32 vcc_lo, exec_lo, s1
	s_cbranch_vccnz .LBB51_3
; %bb.7:                                ;   in Loop: Header=BB51_5 Depth=1
	v_cmp_neq_f64_e64 s1, 0, v[4:5]
	s_and_b32 vcc_lo, exec_lo, s2
	s_cbranch_vccnz .LBB51_9
; %bb.8:                                ;   in Loop: Header=BB51_5 Depth=1
	s_lshl_b64 s[2:3], s[20:21], 3
	s_delay_alu instid0(SALU_CYCLE_1)
	s_add_nc_u64 s[2:3], s[8:9], s[2:3]
	s_load_b64 s[2:3], s[2:3], 0x0
	s_wait_kmcnt 0x0
	s_wait_xcnt 0x0
	s_add_nc_u64 s[2:3], s[2:3], s[4:5]
	s_branch .LBB51_10
.LBB51_9:                               ;   in Loop: Header=BB51_5 Depth=1
	s_mov_b64 s[2:3], 0
.LBB51_10:                              ;   in Loop: Header=BB51_5 Depth=1
	v_cmp_eq_f64_e32 vcc_lo, 0, v[6:7]
	v_mov_b64_e32 v[8:9], 0
	v_mov_b64_e32 v[10:11], 0
	s_cbranch_vccnz .LBB51_12
; %bb.11:                               ;   in Loop: Header=BB51_5 Depth=1
	s_lshl_b64 s[24:25], s[20:21], 3
	s_delay_alu instid0(SALU_CYCLE_1) | instskip(SKIP_4) | instid1(SALU_CYCLE_1)
	s_add_nc_u64 s[24:25], s[18:19], s[24:25]
	s_load_b64 s[24:25], s[24:25], 0x0
	s_wait_kmcnt 0x0
	s_wait_xcnt 0x0
	s_add_nc_u64 s[24:25], s[24:25], s[10:11]
	v_lshl_add_u64 v[10:11], v[2:3], 3, s[24:25]
	flat_load_b64 v[10:11], v[10:11]
	s_wait_loadcnt_dscnt 0x0
	s_wait_xcnt 0x0
	v_mul_f64_e32 v[10:11], v[6:7], v[10:11]
.LBB51_12:                              ;   in Loop: Header=BB51_5 Depth=1
	s_and_not1_b32 vcc_lo, exec_lo, s1
	s_cbranch_vccnz .LBB51_2
; %bb.13:                               ;   in Loop: Header=BB51_5 Depth=1
	v_lshl_add_u64 v[6:7], v[2:3], 3, s[2:3]
	flat_load_b64 v[6:7], v[6:7]
	s_wait_loadcnt_dscnt 0x0
	v_mul_f64_e32 v[8:9], v[4:5], v[6:7]
	s_branch .LBB51_2
.LBB51_14:
	s_endpgm
	.section	.rodata,"a",@progbits
	.p2align	6, 0x0
	.amdhsa_kernel _ZL22rocblas_geam_1D_deviceILi256EPKdPKS1_PKPdEvmT0_T1_llS7_S8_llT2_lli
		.amdhsa_group_segment_fixed_size 0
		.amdhsa_private_segment_fixed_size 0
		.amdhsa_kernarg_size 360
		.amdhsa_user_sgpr_count 2
		.amdhsa_user_sgpr_dispatch_ptr 0
		.amdhsa_user_sgpr_queue_ptr 0
		.amdhsa_user_sgpr_kernarg_segment_ptr 1
		.amdhsa_user_sgpr_dispatch_id 0
		.amdhsa_user_sgpr_kernarg_preload_length 0
		.amdhsa_user_sgpr_kernarg_preload_offset 0
		.amdhsa_user_sgpr_private_segment_size 0
		.amdhsa_wavefront_size32 1
		.amdhsa_uses_dynamic_stack 0
		.amdhsa_enable_private_segment 0
		.amdhsa_system_sgpr_workgroup_id_x 1
		.amdhsa_system_sgpr_workgroup_id_y 0
		.amdhsa_system_sgpr_workgroup_id_z 1
		.amdhsa_system_sgpr_workgroup_info 0
		.amdhsa_system_vgpr_workitem_id 0
		.amdhsa_next_free_vgpr 12
		.amdhsa_next_free_sgpr 26
		.amdhsa_named_barrier_count 0
		.amdhsa_reserve_vcc 1
		.amdhsa_float_round_mode_32 0
		.amdhsa_float_round_mode_16_64 0
		.amdhsa_float_denorm_mode_32 3
		.amdhsa_float_denorm_mode_16_64 3
		.amdhsa_fp16_overflow 0
		.amdhsa_memory_ordered 1
		.amdhsa_forward_progress 1
		.amdhsa_inst_pref_size 5
		.amdhsa_round_robin_scheduling 0
		.amdhsa_exception_fp_ieee_invalid_op 0
		.amdhsa_exception_fp_denorm_src 0
		.amdhsa_exception_fp_ieee_div_zero 0
		.amdhsa_exception_fp_ieee_overflow 0
		.amdhsa_exception_fp_ieee_underflow 0
		.amdhsa_exception_fp_ieee_inexact 0
		.amdhsa_exception_int_div_zero 0
	.end_amdhsa_kernel
	.section	.text._ZL22rocblas_geam_1D_deviceILi256EPKdPKS1_PKPdEvmT0_T1_llS7_S8_llT2_lli,"axG",@progbits,_ZL22rocblas_geam_1D_deviceILi256EPKdPKS1_PKPdEvmT0_T1_llS7_S8_llT2_lli,comdat
.Lfunc_end51:
	.size	_ZL22rocblas_geam_1D_deviceILi256EPKdPKS1_PKPdEvmT0_T1_llS7_S8_llT2_lli, .Lfunc_end51-_ZL22rocblas_geam_1D_deviceILi256EPKdPKS1_PKPdEvmT0_T1_llS7_S8_llT2_lli
                                        ; -- End function
	.set _ZL22rocblas_geam_1D_deviceILi256EPKdPKS1_PKPdEvmT0_T1_llS7_S8_llT2_lli.num_vgpr, 12
	.set _ZL22rocblas_geam_1D_deviceILi256EPKdPKS1_PKPdEvmT0_T1_llS7_S8_llT2_lli.num_agpr, 0
	.set _ZL22rocblas_geam_1D_deviceILi256EPKdPKS1_PKPdEvmT0_T1_llS7_S8_llT2_lli.numbered_sgpr, 26
	.set _ZL22rocblas_geam_1D_deviceILi256EPKdPKS1_PKPdEvmT0_T1_llS7_S8_llT2_lli.num_named_barrier, 0
	.set _ZL22rocblas_geam_1D_deviceILi256EPKdPKS1_PKPdEvmT0_T1_llS7_S8_llT2_lli.private_seg_size, 0
	.set _ZL22rocblas_geam_1D_deviceILi256EPKdPKS1_PKPdEvmT0_T1_llS7_S8_llT2_lli.uses_vcc, 1
	.set _ZL22rocblas_geam_1D_deviceILi256EPKdPKS1_PKPdEvmT0_T1_llS7_S8_llT2_lli.uses_flat_scratch, 0
	.set _ZL22rocblas_geam_1D_deviceILi256EPKdPKS1_PKPdEvmT0_T1_llS7_S8_llT2_lli.has_dyn_sized_stack, 0
	.set _ZL22rocblas_geam_1D_deviceILi256EPKdPKS1_PKPdEvmT0_T1_llS7_S8_llT2_lli.has_recursion, 0
	.set _ZL22rocblas_geam_1D_deviceILi256EPKdPKS1_PKPdEvmT0_T1_llS7_S8_llT2_lli.has_indirect_call, 0
	.section	.AMDGPU.csdata,"",@progbits
; Kernel info:
; codeLenInByte = 532
; TotalNumSgprs: 28
; NumVgprs: 12
; ScratchSize: 0
; MemoryBound: 0
; FloatMode: 240
; IeeeMode: 1
; LDSByteSize: 0 bytes/workgroup (compile time only)
; SGPRBlocks: 0
; VGPRBlocks: 0
; NumSGPRsForWavesPerEU: 28
; NumVGPRsForWavesPerEU: 12
; NamedBarCnt: 0
; Occupancy: 16
; WaveLimiterHint : 1
; COMPUTE_PGM_RSRC2:SCRATCH_EN: 0
; COMPUTE_PGM_RSRC2:USER_SGPR: 2
; COMPUTE_PGM_RSRC2:TRAP_HANDLER: 0
; COMPUTE_PGM_RSRC2:TGID_X_EN: 1
; COMPUTE_PGM_RSRC2:TGID_Y_EN: 0
; COMPUTE_PGM_RSRC2:TGID_Z_EN: 1
; COMPUTE_PGM_RSRC2:TIDIG_COMP_CNT: 0
	.section	.text._ZL19rocblas_geam_deviceILi16ELi16EdPKPKdPKPdEv18rocblas_operation_S7_iiT1_T2_lllS8_S9_lllT3_llli,"axG",@progbits,_ZL19rocblas_geam_deviceILi16ELi16EdPKPKdPKPdEv18rocblas_operation_S7_iiT1_T2_lllS8_S9_lllT3_llli,comdat
	.globl	_ZL19rocblas_geam_deviceILi16ELi16EdPKPKdPKPdEv18rocblas_operation_S7_iiT1_T2_lllS8_S9_lllT3_llli ; -- Begin function _ZL19rocblas_geam_deviceILi16ELi16EdPKPKdPKPdEv18rocblas_operation_S7_iiT1_T2_lllS8_S9_lllT3_llli
	.p2align	8
	.type	_ZL19rocblas_geam_deviceILi16ELi16EdPKPKdPKPdEv18rocblas_operation_S7_iiT1_T2_lllS8_S9_lllT3_llli,@function
_ZL19rocblas_geam_deviceILi16ELi16EdPKPKdPKPdEv18rocblas_operation_S7_iiT1_T2_lllS8_S9_lllT3_llli: ; @_ZL19rocblas_geam_deviceILi16ELi16EdPKPKdPKPdEv18rocblas_operation_S7_iiT1_T2_lllS8_S9_lllT3_llli
; %bb.0:
	s_load_b32 s28, s[0:1], 0x80
	s_bfe_u32 s2, ttmp6, 0x40014
	s_lshr_b32 s3, ttmp7, 16
	s_add_co_i32 s2, s2, 1
	s_bfe_u32 s5, ttmp6, 0x40008
	s_mul_i32 s2, s3, s2
	s_getreg_b32 s4, hwreg(HW_REG_IB_STS2, 6, 4)
	s_add_co_i32 s5, s5, s2
	s_cmp_eq_u32 s4, 0
	s_cselect_b32 s2, s3, s5
	s_mov_b32 s3, 0
	s_wait_kmcnt 0x0
	s_cmp_ge_u32 s2, s28
	s_cbranch_scc1 .LBB52_15
; %bb.1:
	s_load_b128 s[24:27], s[0:1], 0x0
	s_bfe_u32 s8, ttmp6, 0x4000c
	s_and_b32 s7, ttmp6, 15
	s_add_co_i32 s8, s8, 1
	s_delay_alu instid0(SALU_CYCLE_1) | instskip(NEXT) | instid1(SALU_CYCLE_1)
	s_mul_i32 s8, ttmp9, s8
	s_add_co_i32 s7, s7, s8
	s_wait_kmcnt 0x0
	s_add_co_i32 s5, s26, -1
	s_delay_alu instid0(SALU_CYCLE_1) | instskip(NEXT) | instid1(SALU_CYCLE_1)
	s_ashr_i32 s6, s5, 31
	s_lshr_b32 s6, s6, 28
	s_delay_alu instid0(SALU_CYCLE_1) | instskip(NEXT) | instid1(SALU_CYCLE_1)
	s_add_co_i32 s5, s5, s6
	s_ashr_i32 s5, s5, 4
	s_delay_alu instid0(SALU_CYCLE_1) | instskip(SKIP_2) | instid1(SALU_CYCLE_3)
	s_add_co_i32 s20, s5, 1
	s_not_b32 s5, s5
	s_cvt_f32_u32 s6, s20
	v_rcp_iflag_f32_e32 v1, s6
	v_nop
	s_delay_alu instid0(TRANS32_DEP_1) | instskip(SKIP_3) | instid1(SALU_CYCLE_3)
	v_readfirstlane_b32 s6, v1
	v_bfe_u32 v1, v0, 10, 10
	v_and_b32_e32 v0, 0x3ff, v0
	s_mul_f32 s6, s6, 0x4f7ffffe
	s_cvt_u32_f32 s6, s6
	s_delay_alu instid0(SALU_CYCLE_3) | instskip(NEXT) | instid1(SALU_CYCLE_1)
	s_mul_i32 s5, s5, s6
	s_mul_hi_u32 s5, s6, s5
	s_delay_alu instid0(SALU_CYCLE_1) | instskip(SKIP_2) | instid1(SALU_CYCLE_1)
	s_add_co_i32 s6, s6, s5
	s_cmp_eq_u32 s4, 0
	s_cselect_b32 s21, ttmp9, s7
	s_mul_hi_u32 s22, s21, s6
	s_load_b256 s[4:11], s[0:1], 0x10
	s_mul_i32 s12, s22, s20
	s_add_co_i32 s29, s22, 1
	s_sub_co_i32 s23, s21, s12
	s_load_b256 s[12:19], s[0:1], 0x38
	s_sub_co_i32 s30, s23, s20
	s_cmp_ge_u32 s23, s20
	s_cselect_b32 s22, s29, s22
	s_cselect_b32 s23, s30, s23
	s_add_co_i32 s29, s22, 1
	s_cmp_ge_u32 s23, s20
	s_load_b64 s[30:31], s[0:1], 0x70
	s_cselect_b32 s22, s29, s22
	s_delay_alu instid0(SALU_CYCLE_1) | instskip(SKIP_2) | instid1(SALU_CYCLE_1)
	s_mul_i32 s20, s22, s20
	v_lshl_add_u32 v4, s22, 4, v1
	s_sub_co_i32 s20, s21, s20
	v_lshl_add_u32 v0, s20, 4, v0
	s_load_b128 s[20:23], s[0:1], 0x60
	s_delay_alu instid0(VALU_DEP_2)
	v_cmp_gt_i32_e32 vcc_lo, s27, v4
	s_wait_kmcnt 0x0
	v_cmp_neq_f64_e64 s27, s[4:5], 0
	v_cmp_gt_i32_e64 s0, s26, v0
	s_and_b32 s26, s0, vcc_lo
	s_cmp_eq_u32 s24, 0x6f
	v_cmp_eq_f64_e64 s24, s[4:5], 0
	s_cselect_b32 vcc_lo, -1, 0
	s_cmp_eq_u32 s25, 0x6f
	v_ashrrev_i32_e32 v5, 31, v4
	s_cselect_b32 s0, -1, 0
	v_ashrrev_i32_e32 v1, 31, v0
	v_cmp_neq_f64_e64 s25, s[12:13], 0
	s_delay_alu instid0(VALU_DEP_3) | instskip(SKIP_1) | instid1(VALU_DEP_4)
	v_mad_nc_u64_u32 v[6:7], s18, v0, v[4:5]
	v_mad_nc_u64_u32 v[10:11], s10, v0, v[4:5]
	v_mad_nc_u64_u32 v[8:9], s18, v4, v[0:1]
	v_mad_nc_u64_u32 v[12:13], s10, v4, v[0:1]
	v_mul_u64_e32 v[2:3], s[30:31], v[4:5]
	v_mad_u32 v7, s19, v0, v7
	v_mad_u32 v11, s11, v0, v11
	;; [unrolled: 1-line block ×4, first 2 shown]
	s_delay_alu instid0(VALU_DEP_4) | instskip(NEXT) | instid1(VALU_DEP_3)
	v_mad_u32 v4, s18, v1, v7
	v_mad_u32 v7, s18, v5, v9
	v_mad_u32 v9, s10, v1, v11
	s_delay_alu instid0(VALU_DEP_4) | instskip(SKIP_1) | instid1(VALU_DEP_3)
	v_mad_u32 v11, s10, v5, v13
	s_lshl_b64 s[10:11], s[22:23], 3
	v_dual_cndmask_b32 v5, v4, v7, s0 :: v_dual_cndmask_b32 v4, v6, v8, s0
	s_delay_alu instid0(VALU_DEP_2)
	v_dual_cndmask_b32 v7, v9, v11 :: v_dual_cndmask_b32 v6, v10, v12
	s_lshl_b64 s[0:1], s[8:9], 3
	s_lshl_b64 s[8:9], s[16:17], 3
	s_branch .LBB52_4
.LBB52_2:                               ;   in Loop: Header=BB52_4 Depth=1
	s_wait_loadcnt_dscnt 0x0
	s_wait_xcnt 0x0
	v_mul_f64_e32 v[10:11], s[12:13], v[10:11]
	s_lshl_b64 s[16:17], s[2:3], 3
	s_delay_alu instid0(SALU_CYCLE_1) | instskip(SKIP_4) | instid1(VALU_DEP_1)
	s_add_nc_u64 s[16:17], s[20:21], s[16:17]
	s_load_b64 s[16:17], s[16:17], 0x0
	s_wait_kmcnt 0x0
	s_wait_xcnt 0x0
	s_add_nc_u64 s[16:17], s[16:17], s[10:11]
	v_fmac_f64_e32 v[10:11], s[4:5], v[8:9]
	v_lshl_add_u64 v[8:9], v[2:3], 3, s[16:17]
	s_delay_alu instid0(VALU_DEP_1)
	v_lshl_add_u64 v[8:9], v[0:1], 3, v[8:9]
	flat_store_b64 v[8:9], v[10:11]
.LBB52_3:                               ;   in Loop: Header=BB52_4 Depth=1
	s_wait_xcnt 0x0
	s_or_b32 exec_lo, exec_lo, s22
	s_add_co_i32 s2, s2, 0x10000
	s_delay_alu instid0(SALU_CYCLE_1)
	s_cmp_lt_u32 s2, s28
	s_cbranch_scc0 .LBB52_15
.LBB52_4:                               ; =>This Inner Loop Header: Depth=1
	s_and_saveexec_b32 s22, s26
	s_cbranch_execz .LBB52_3
; %bb.5:                                ;   in Loop: Header=BB52_4 Depth=1
	s_and_not1_b32 vcc_lo, exec_lo, s24
	s_cbranch_vccnz .LBB52_7
; %bb.6:                                ;   in Loop: Header=BB52_4 Depth=1
	s_mov_b64 s[16:17], 0
	s_mov_b64 s[18:19], 0
	s_cbranch_execz .LBB52_8
	s_branch .LBB52_9
.LBB52_7:                               ;   in Loop: Header=BB52_4 Depth=1
	s_mov_b64 s[16:17], 0
	s_mov_b64 s[18:19], 0
.LBB52_8:                               ;   in Loop: Header=BB52_4 Depth=1
	s_lshl_b64 s[18:19], s[2:3], 3
	s_delay_alu instid0(SALU_CYCLE_1)
	s_add_nc_u64 s[18:19], s[6:7], s[18:19]
	s_load_b64 s[18:19], s[18:19], 0x0
	s_wait_kmcnt 0x0
	s_wait_xcnt 0x0
	s_add_nc_u64 s[18:19], s[18:19], s[0:1]
.LBB52_9:                               ;   in Loop: Header=BB52_4 Depth=1
	s_and_not1_b32 vcc_lo, exec_lo, s25
	s_cbranch_vccnz .LBB52_11
; %bb.10:                               ;   in Loop: Header=BB52_4 Depth=1
	s_lshl_b64 s[16:17], s[2:3], 3
	s_delay_alu instid0(SALU_CYCLE_1)
	s_add_nc_u64 s[16:17], s[14:15], s[16:17]
	s_load_b64 s[16:17], s[16:17], 0x0
	s_wait_kmcnt 0x0
	s_wait_xcnt 0x0
	s_add_nc_u64 s[16:17], s[16:17], s[8:9]
.LBB52_11:                              ;   in Loop: Header=BB52_4 Depth=1
	v_mov_b64_e32 v[10:11], 0
	v_mov_b64_e32 v[8:9], 0
	s_and_not1_b32 vcc_lo, exec_lo, s27
	s_cbranch_vccnz .LBB52_13
; %bb.12:                               ;   in Loop: Header=BB52_4 Depth=1
	v_lshl_add_u64 v[8:9], v[6:7], 3, s[18:19]
	flat_load_b64 v[8:9], v[8:9]
.LBB52_13:                              ;   in Loop: Header=BB52_4 Depth=1
	s_and_not1_b32 vcc_lo, exec_lo, s25
	s_cbranch_vccnz .LBB52_2
; %bb.14:                               ;   in Loop: Header=BB52_4 Depth=1
	v_lshl_add_u64 v[10:11], v[4:5], 3, s[16:17]
	flat_load_b64 v[10:11], v[10:11]
	s_branch .LBB52_2
.LBB52_15:
	s_endpgm
	.section	.rodata,"a",@progbits
	.p2align	6, 0x0
	.amdhsa_kernel _ZL19rocblas_geam_deviceILi16ELi16EdPKPKdPKPdEv18rocblas_operation_S7_iiT1_T2_lllS8_S9_lllT3_llli
		.amdhsa_group_segment_fixed_size 0
		.amdhsa_private_segment_fixed_size 0
		.amdhsa_kernarg_size 132
		.amdhsa_user_sgpr_count 2
		.amdhsa_user_sgpr_dispatch_ptr 0
		.amdhsa_user_sgpr_queue_ptr 0
		.amdhsa_user_sgpr_kernarg_segment_ptr 1
		.amdhsa_user_sgpr_dispatch_id 0
		.amdhsa_user_sgpr_kernarg_preload_length 0
		.amdhsa_user_sgpr_kernarg_preload_offset 0
		.amdhsa_user_sgpr_private_segment_size 0
		.amdhsa_wavefront_size32 1
		.amdhsa_uses_dynamic_stack 0
		.amdhsa_enable_private_segment 0
		.amdhsa_system_sgpr_workgroup_id_x 1
		.amdhsa_system_sgpr_workgroup_id_y 0
		.amdhsa_system_sgpr_workgroup_id_z 1
		.amdhsa_system_sgpr_workgroup_info 0
		.amdhsa_system_vgpr_workitem_id 1
		.amdhsa_next_free_vgpr 14
		.amdhsa_next_free_sgpr 32
		.amdhsa_named_barrier_count 0
		.amdhsa_reserve_vcc 1
		.amdhsa_float_round_mode_32 0
		.amdhsa_float_round_mode_16_64 0
		.amdhsa_float_denorm_mode_32 3
		.amdhsa_float_denorm_mode_16_64 3
		.amdhsa_fp16_overflow 0
		.amdhsa_memory_ordered 1
		.amdhsa_forward_progress 1
		.amdhsa_inst_pref_size 7
		.amdhsa_round_robin_scheduling 0
		.amdhsa_exception_fp_ieee_invalid_op 0
		.amdhsa_exception_fp_denorm_src 0
		.amdhsa_exception_fp_ieee_div_zero 0
		.amdhsa_exception_fp_ieee_overflow 0
		.amdhsa_exception_fp_ieee_underflow 0
		.amdhsa_exception_fp_ieee_inexact 0
		.amdhsa_exception_int_div_zero 0
	.end_amdhsa_kernel
	.section	.text._ZL19rocblas_geam_deviceILi16ELi16EdPKPKdPKPdEv18rocblas_operation_S7_iiT1_T2_lllS8_S9_lllT3_llli,"axG",@progbits,_ZL19rocblas_geam_deviceILi16ELi16EdPKPKdPKPdEv18rocblas_operation_S7_iiT1_T2_lllS8_S9_lllT3_llli,comdat
.Lfunc_end52:
	.size	_ZL19rocblas_geam_deviceILi16ELi16EdPKPKdPKPdEv18rocblas_operation_S7_iiT1_T2_lllS8_S9_lllT3_llli, .Lfunc_end52-_ZL19rocblas_geam_deviceILi16ELi16EdPKPKdPKPdEv18rocblas_operation_S7_iiT1_T2_lllS8_S9_lllT3_llli
                                        ; -- End function
	.set _ZL19rocblas_geam_deviceILi16ELi16EdPKPKdPKPdEv18rocblas_operation_S7_iiT1_T2_lllS8_S9_lllT3_llli.num_vgpr, 14
	.set _ZL19rocblas_geam_deviceILi16ELi16EdPKPKdPKPdEv18rocblas_operation_S7_iiT1_T2_lllS8_S9_lllT3_llli.num_agpr, 0
	.set _ZL19rocblas_geam_deviceILi16ELi16EdPKPKdPKPdEv18rocblas_operation_S7_iiT1_T2_lllS8_S9_lllT3_llli.numbered_sgpr, 32
	.set _ZL19rocblas_geam_deviceILi16ELi16EdPKPKdPKPdEv18rocblas_operation_S7_iiT1_T2_lllS8_S9_lllT3_llli.num_named_barrier, 0
	.set _ZL19rocblas_geam_deviceILi16ELi16EdPKPKdPKPdEv18rocblas_operation_S7_iiT1_T2_lllS8_S9_lllT3_llli.private_seg_size, 0
	.set _ZL19rocblas_geam_deviceILi16ELi16EdPKPKdPKPdEv18rocblas_operation_S7_iiT1_T2_lllS8_S9_lllT3_llli.uses_vcc, 1
	.set _ZL19rocblas_geam_deviceILi16ELi16EdPKPKdPKPdEv18rocblas_operation_S7_iiT1_T2_lllS8_S9_lllT3_llli.uses_flat_scratch, 0
	.set _ZL19rocblas_geam_deviceILi16ELi16EdPKPKdPKPdEv18rocblas_operation_S7_iiT1_T2_lllS8_S9_lllT3_llli.has_dyn_sized_stack, 0
	.set _ZL19rocblas_geam_deviceILi16ELi16EdPKPKdPKPdEv18rocblas_operation_S7_iiT1_T2_lllS8_S9_lllT3_llli.has_recursion, 0
	.set _ZL19rocblas_geam_deviceILi16ELi16EdPKPKdPKPdEv18rocblas_operation_S7_iiT1_T2_lllS8_S9_lllT3_llli.has_indirect_call, 0
	.section	.AMDGPU.csdata,"",@progbits
; Kernel info:
; codeLenInByte = 852
; TotalNumSgprs: 34
; NumVgprs: 14
; ScratchSize: 0
; MemoryBound: 0
; FloatMode: 240
; IeeeMode: 1
; LDSByteSize: 0 bytes/workgroup (compile time only)
; SGPRBlocks: 0
; VGPRBlocks: 0
; NumSGPRsForWavesPerEU: 34
; NumVGPRsForWavesPerEU: 14
; NamedBarCnt: 0
; Occupancy: 16
; WaveLimiterHint : 1
; COMPUTE_PGM_RSRC2:SCRATCH_EN: 0
; COMPUTE_PGM_RSRC2:USER_SGPR: 2
; COMPUTE_PGM_RSRC2:TRAP_HANDLER: 0
; COMPUTE_PGM_RSRC2:TGID_X_EN: 1
; COMPUTE_PGM_RSRC2:TGID_Y_EN: 0
; COMPUTE_PGM_RSRC2:TGID_Z_EN: 1
; COMPUTE_PGM_RSRC2:TIDIG_COMP_CNT: 1
	.section	.text._ZL19rocblas_geam_deviceILi16ELi16EPKdPKS1_PKPdEv18rocblas_operation_S7_iiT1_T2_lllS8_S9_lllT3_llli,"axG",@progbits,_ZL19rocblas_geam_deviceILi16ELi16EPKdPKS1_PKPdEv18rocblas_operation_S7_iiT1_T2_lllS8_S9_lllT3_llli,comdat
	.globl	_ZL19rocblas_geam_deviceILi16ELi16EPKdPKS1_PKPdEv18rocblas_operation_S7_iiT1_T2_lllS8_S9_lllT3_llli ; -- Begin function _ZL19rocblas_geam_deviceILi16ELi16EPKdPKS1_PKPdEv18rocblas_operation_S7_iiT1_T2_lllS8_S9_lllT3_llli
	.p2align	8
	.type	_ZL19rocblas_geam_deviceILi16ELi16EPKdPKS1_PKPdEv18rocblas_operation_S7_iiT1_T2_lllS8_S9_lllT3_llli,@function
_ZL19rocblas_geam_deviceILi16ELi16EPKdPKS1_PKPdEv18rocblas_operation_S7_iiT1_T2_lllS8_S9_lllT3_llli: ; @_ZL19rocblas_geam_deviceILi16ELi16EPKdPKS1_PKPdEv18rocblas_operation_S7_iiT1_T2_lllS8_S9_lllT3_llli
; %bb.0:
	s_load_b32 s28, s[0:1], 0x80
	s_bfe_u32 s2, ttmp6, 0x40014
	s_lshr_b32 s3, ttmp7, 16
	s_add_co_i32 s2, s2, 1
	s_bfe_u32 s5, ttmp6, 0x40008
	s_mul_i32 s2, s3, s2
	s_getreg_b32 s4, hwreg(HW_REG_IB_STS2, 6, 4)
	s_add_co_i32 s5, s5, s2
	s_cmp_eq_u32 s4, 0
	s_cselect_b32 s2, s3, s5
	s_mov_b32 s3, 0
	s_wait_kmcnt 0x0
	s_cmp_ge_u32 s2, s28
	s_cbranch_scc1 .LBB53_15
; %bb.1:
	s_load_b128 s[24:27], s[0:1], 0x0
	s_bfe_u32 s8, ttmp6, 0x4000c
	s_and_b32 s7, ttmp6, 15
	s_add_co_i32 s8, s8, 1
	v_mov_b32_e32 v16, 0
	s_mul_i32 s8, ttmp9, s8
	s_delay_alu instid0(SALU_CYCLE_1) | instskip(SKIP_2) | instid1(SALU_CYCLE_1)
	s_add_co_i32 s7, s7, s8
	s_wait_kmcnt 0x0
	s_add_co_i32 s5, s26, -1
	s_ashr_i32 s6, s5, 31
	s_delay_alu instid0(SALU_CYCLE_1) | instskip(NEXT) | instid1(SALU_CYCLE_1)
	s_lshr_b32 s6, s6, 28
	s_add_co_i32 s5, s5, s6
	s_delay_alu instid0(SALU_CYCLE_1) | instskip(NEXT) | instid1(SALU_CYCLE_1)
	s_ashr_i32 s5, s5, 4
	s_add_co_i32 s20, s5, 1
	s_not_b32 s5, s5
	s_cvt_f32_u32 s6, s20
	s_delay_alu instid0(SALU_CYCLE_3) | instskip(SKIP_1) | instid1(TRANS32_DEP_1)
	v_rcp_iflag_f32_e32 v1, s6
	v_nop
	v_readfirstlane_b32 s6, v1
	v_bfe_u32 v1, v0, 10, 10
	v_and_b32_e32 v0, 0x3ff, v0
	s_mul_f32 s6, s6, 0x4f7ffffe
	s_delay_alu instid0(SALU_CYCLE_3) | instskip(NEXT) | instid1(SALU_CYCLE_3)
	s_cvt_u32_f32 s6, s6
	s_mul_i32 s5, s5, s6
	s_delay_alu instid0(SALU_CYCLE_1) | instskip(NEXT) | instid1(SALU_CYCLE_1)
	s_mul_hi_u32 s5, s6, s5
	s_add_co_i32 s6, s6, s5
	s_cmp_eq_u32 s4, 0
	s_cselect_b32 s21, ttmp9, s7
	s_delay_alu instid0(SALU_CYCLE_1)
	s_mul_hi_u32 s22, s21, s6
	s_load_b256 s[4:11], s[0:1], 0x10
	s_mul_i32 s12, s22, s20
	s_add_co_i32 s29, s22, 1
	s_sub_co_i32 s23, s21, s12
	s_load_b256 s[12:19], s[0:1], 0x38
	s_sub_co_i32 s30, s23, s20
	s_cmp_ge_u32 s23, s20
	s_cselect_b32 s22, s29, s22
	s_cselect_b32 s23, s30, s23
	s_add_co_i32 s29, s22, 1
	s_cmp_ge_u32 s23, s20
	s_load_b64 s[30:31], s[0:1], 0x70
	s_cselect_b32 s22, s29, s22
	s_delay_alu instid0(SALU_CYCLE_1) | instskip(SKIP_2) | instid1(SALU_CYCLE_1)
	s_mul_i32 s20, s22, s20
	v_lshl_add_u32 v4, s22, 4, v1
	s_sub_co_i32 s20, s21, s20
	v_lshl_add_u32 v0, s20, 4, v0
	s_load_b128 s[20:23], s[0:1], 0x60
	s_delay_alu instid0(VALU_DEP_2) | instskip(SKIP_1) | instid1(VALU_DEP_2)
	v_cmp_gt_i32_e32 vcc_lo, s27, v4
	s_wait_xcnt 0x0
	v_cmp_gt_i32_e64 s0, s26, v0
	s_and_b32 s26, s0, vcc_lo
	s_cmp_eq_u32 s24, 0x6f
	s_cselect_b32 vcc_lo, -1, 0
	s_cmp_eq_u32 s25, 0x6f
	v_ashrrev_i32_e32 v5, 31, v4
	s_cselect_b32 s0, -1, 0
	v_ashrrev_i32_e32 v1, 31, v0
	s_wait_kmcnt 0x0
	s_lshl_b64 s[8:9], s[8:9], 3
	v_mad_nc_u64_u32 v[6:7], s18, v0, v[4:5]
	v_mad_nc_u64_u32 v[10:11], s10, v0, v[4:5]
	;; [unrolled: 1-line block ×4, first 2 shown]
	v_mul_u64_e32 v[2:3], s[30:31], v[4:5]
	v_mad_u32 v7, s19, v0, v7
	v_mad_u32 v11, s11, v0, v11
	;; [unrolled: 1-line block ×4, first 2 shown]
	s_delay_alu instid0(VALU_DEP_4) | instskip(NEXT) | instid1(VALU_DEP_3)
	v_mad_u32 v4, s18, v1, v7
	v_mad_u32 v7, s18, v5, v9
	;; [unrolled: 1-line block ×3, first 2 shown]
	s_delay_alu instid0(VALU_DEP_4) | instskip(SKIP_2) | instid1(VALU_DEP_3)
	v_mad_u32 v11, s10, v5, v13
	s_lshl_b64 s[10:11], s[16:17], 3
	s_lshl_b64 s[16:17], s[22:23], 3
	v_dual_cndmask_b32 v5, v4, v7, s0 :: v_dual_cndmask_b32 v4, v6, v8, s0
	s_delay_alu instid0(VALU_DEP_2)
	v_dual_cndmask_b32 v7, v9, v11 :: v_dual_cndmask_b32 v6, v10, v12
	s_branch .LBB53_4
.LBB53_2:                               ;   in Loop: Header=BB53_4 Depth=1
	s_wait_loadcnt_dscnt 0x0
	v_mul_f64_e32 v[10:11], v[10:11], v[14:15]
	s_lshl_b64 s[0:1], s[2:3], 3
	s_delay_alu instid0(SALU_CYCLE_1) | instskip(SKIP_4) | instid1(VALU_DEP_1)
	s_add_nc_u64 s[0:1], s[20:21], s[0:1]
	s_load_b64 s[0:1], s[0:1], 0x0
	s_wait_kmcnt 0x0
	s_wait_xcnt 0x0
	s_add_nc_u64 s[0:1], s[0:1], s[16:17]
	v_fmac_f64_e32 v[10:11], v[8:9], v[12:13]
	v_lshl_add_u64 v[8:9], v[2:3], 3, s[0:1]
	s_delay_alu instid0(VALU_DEP_1)
	v_lshl_add_u64 v[8:9], v[0:1], 3, v[8:9]
	flat_store_b64 v[8:9], v[10:11]
.LBB53_3:                               ;   in Loop: Header=BB53_4 Depth=1
	s_wait_xcnt 0x0
	s_or_b32 exec_lo, exec_lo, s24
	s_add_co_i32 s2, s2, 0x10000
	s_delay_alu instid0(SALU_CYCLE_1)
	s_cmp_lt_u32 s2, s28
	s_cbranch_scc0 .LBB53_15
.LBB53_4:                               ; =>This Inner Loop Header: Depth=1
	s_and_saveexec_b32 s24, s26
	s_cbranch_execz .LBB53_3
; %bb.5:                                ;   in Loop: Header=BB53_4 Depth=1
	s_clause 0x1
	global_load_b64 v[8:9], v16, s[4:5]
	global_load_b64 v[10:11], v16, s[12:13]
	s_wait_loadcnt 0x1
	v_cmp_neq_f64_e64 s0, 0, v[8:9]
	s_and_b32 vcc_lo, exec_lo, s0
	s_cbranch_vccnz .LBB53_7
; %bb.6:                                ;   in Loop: Header=BB53_4 Depth=1
	s_mov_b64 s[18:19], 0
	s_mov_b64 s[22:23], 0
	s_cbranch_execz .LBB53_8
	s_branch .LBB53_9
.LBB53_7:                               ;   in Loop: Header=BB53_4 Depth=1
	s_mov_b64 s[18:19], 0
	s_mov_b64 s[22:23], 0
.LBB53_8:                               ;   in Loop: Header=BB53_4 Depth=1
	s_lshl_b64 s[22:23], s[2:3], 3
	s_delay_alu instid0(SALU_CYCLE_1)
	s_add_nc_u64 s[22:23], s[6:7], s[22:23]
	s_load_b64 s[22:23], s[22:23], 0x0
	s_wait_kmcnt 0x0
	s_wait_xcnt 0x0
	s_add_nc_u64 s[22:23], s[22:23], s[8:9]
.LBB53_9:                               ;   in Loop: Header=BB53_4 Depth=1
	s_wait_loadcnt 0x0
	v_cmp_eq_f64_e32 vcc_lo, 0, v[10:11]
	v_cmp_neq_f64_e64 s1, 0, v[10:11]
	s_cbranch_vccnz .LBB53_11
; %bb.10:                               ;   in Loop: Header=BB53_4 Depth=1
	s_lshl_b64 s[18:19], s[2:3], 3
	s_delay_alu instid0(SALU_CYCLE_1)
	s_add_nc_u64 s[18:19], s[14:15], s[18:19]
	s_load_b64 s[18:19], s[18:19], 0x0
	s_wait_kmcnt 0x0
	s_wait_xcnt 0x0
	s_add_nc_u64 s[18:19], s[18:19], s[10:11]
.LBB53_11:                              ;   in Loop: Header=BB53_4 Depth=1
	v_mov_b64_e32 v[14:15], 0
	v_mov_b64_e32 v[12:13], 0
	s_and_not1_b32 vcc_lo, exec_lo, s0
	s_cbranch_vccnz .LBB53_13
; %bb.12:                               ;   in Loop: Header=BB53_4 Depth=1
	v_lshl_add_u64 v[12:13], v[6:7], 3, s[22:23]
	flat_load_b64 v[12:13], v[12:13]
.LBB53_13:                              ;   in Loop: Header=BB53_4 Depth=1
	s_and_not1_b32 vcc_lo, exec_lo, s1
	s_cbranch_vccnz .LBB53_2
; %bb.14:                               ;   in Loop: Header=BB53_4 Depth=1
	v_lshl_add_u64 v[14:15], v[4:5], 3, s[18:19]
	flat_load_b64 v[14:15], v[14:15]
	s_branch .LBB53_2
.LBB53_15:
	s_endpgm
	.section	.rodata,"a",@progbits
	.p2align	6, 0x0
	.amdhsa_kernel _ZL19rocblas_geam_deviceILi16ELi16EPKdPKS1_PKPdEv18rocblas_operation_S7_iiT1_T2_lllS8_S9_lllT3_llli
		.amdhsa_group_segment_fixed_size 0
		.amdhsa_private_segment_fixed_size 0
		.amdhsa_kernarg_size 132
		.amdhsa_user_sgpr_count 2
		.amdhsa_user_sgpr_dispatch_ptr 0
		.amdhsa_user_sgpr_queue_ptr 0
		.amdhsa_user_sgpr_kernarg_segment_ptr 1
		.amdhsa_user_sgpr_dispatch_id 0
		.amdhsa_user_sgpr_kernarg_preload_length 0
		.amdhsa_user_sgpr_kernarg_preload_offset 0
		.amdhsa_user_sgpr_private_segment_size 0
		.amdhsa_wavefront_size32 1
		.amdhsa_uses_dynamic_stack 0
		.amdhsa_enable_private_segment 0
		.amdhsa_system_sgpr_workgroup_id_x 1
		.amdhsa_system_sgpr_workgroup_id_y 0
		.amdhsa_system_sgpr_workgroup_id_z 1
		.amdhsa_system_sgpr_workgroup_info 0
		.amdhsa_system_vgpr_workitem_id 1
		.amdhsa_next_free_vgpr 17
		.amdhsa_next_free_sgpr 32
		.amdhsa_named_barrier_count 0
		.amdhsa_reserve_vcc 1
		.amdhsa_float_round_mode_32 0
		.amdhsa_float_round_mode_16_64 0
		.amdhsa_float_denorm_mode_32 3
		.amdhsa_float_denorm_mode_16_64 3
		.amdhsa_fp16_overflow 0
		.amdhsa_memory_ordered 1
		.amdhsa_forward_progress 1
		.amdhsa_inst_pref_size 7
		.amdhsa_round_robin_scheduling 0
		.amdhsa_exception_fp_ieee_invalid_op 0
		.amdhsa_exception_fp_denorm_src 0
		.amdhsa_exception_fp_ieee_div_zero 0
		.amdhsa_exception_fp_ieee_overflow 0
		.amdhsa_exception_fp_ieee_underflow 0
		.amdhsa_exception_fp_ieee_inexact 0
		.amdhsa_exception_int_div_zero 0
	.end_amdhsa_kernel
	.section	.text._ZL19rocblas_geam_deviceILi16ELi16EPKdPKS1_PKPdEv18rocblas_operation_S7_iiT1_T2_lllS8_S9_lllT3_llli,"axG",@progbits,_ZL19rocblas_geam_deviceILi16ELi16EPKdPKS1_PKPdEv18rocblas_operation_S7_iiT1_T2_lllS8_S9_lllT3_llli,comdat
.Lfunc_end53:
	.size	_ZL19rocblas_geam_deviceILi16ELi16EPKdPKS1_PKPdEv18rocblas_operation_S7_iiT1_T2_lllS8_S9_lllT3_llli, .Lfunc_end53-_ZL19rocblas_geam_deviceILi16ELi16EPKdPKS1_PKPdEv18rocblas_operation_S7_iiT1_T2_lllS8_S9_lllT3_llli
                                        ; -- End function
	.set _ZL19rocblas_geam_deviceILi16ELi16EPKdPKS1_PKPdEv18rocblas_operation_S7_iiT1_T2_lllS8_S9_lllT3_llli.num_vgpr, 17
	.set _ZL19rocblas_geam_deviceILi16ELi16EPKdPKS1_PKPdEv18rocblas_operation_S7_iiT1_T2_lllS8_S9_lllT3_llli.num_agpr, 0
	.set _ZL19rocblas_geam_deviceILi16ELi16EPKdPKS1_PKPdEv18rocblas_operation_S7_iiT1_T2_lllS8_S9_lllT3_llli.numbered_sgpr, 32
	.set _ZL19rocblas_geam_deviceILi16ELi16EPKdPKS1_PKPdEv18rocblas_operation_S7_iiT1_T2_lllS8_S9_lllT3_llli.num_named_barrier, 0
	.set _ZL19rocblas_geam_deviceILi16ELi16EPKdPKS1_PKPdEv18rocblas_operation_S7_iiT1_T2_lllS8_S9_lllT3_llli.private_seg_size, 0
	.set _ZL19rocblas_geam_deviceILi16ELi16EPKdPKS1_PKPdEv18rocblas_operation_S7_iiT1_T2_lllS8_S9_lllT3_llli.uses_vcc, 1
	.set _ZL19rocblas_geam_deviceILi16ELi16EPKdPKS1_PKPdEv18rocblas_operation_S7_iiT1_T2_lllS8_S9_lllT3_llli.uses_flat_scratch, 0
	.set _ZL19rocblas_geam_deviceILi16ELi16EPKdPKS1_PKPdEv18rocblas_operation_S7_iiT1_T2_lllS8_S9_lllT3_llli.has_dyn_sized_stack, 0
	.set _ZL19rocblas_geam_deviceILi16ELi16EPKdPKS1_PKPdEv18rocblas_operation_S7_iiT1_T2_lllS8_S9_lllT3_llli.has_recursion, 0
	.set _ZL19rocblas_geam_deviceILi16ELi16EPKdPKS1_PKPdEv18rocblas_operation_S7_iiT1_T2_lllS8_S9_lllT3_llli.has_indirect_call, 0
	.section	.AMDGPU.csdata,"",@progbits
; Kernel info:
; codeLenInByte = 880
; TotalNumSgprs: 34
; NumVgprs: 17
; ScratchSize: 0
; MemoryBound: 0
; FloatMode: 240
; IeeeMode: 1
; LDSByteSize: 0 bytes/workgroup (compile time only)
; SGPRBlocks: 0
; VGPRBlocks: 1
; NumSGPRsForWavesPerEU: 34
; NumVGPRsForWavesPerEU: 17
; NamedBarCnt: 0
; Occupancy: 16
; WaveLimiterHint : 1
; COMPUTE_PGM_RSRC2:SCRATCH_EN: 0
; COMPUTE_PGM_RSRC2:USER_SGPR: 2
; COMPUTE_PGM_RSRC2:TRAP_HANDLER: 0
; COMPUTE_PGM_RSRC2:TGID_X_EN: 1
; COMPUTE_PGM_RSRC2:TGID_Y_EN: 0
; COMPUTE_PGM_RSRC2:TGID_Z_EN: 1
; COMPUTE_PGM_RSRC2:TIDIG_COMP_CNT: 1
	.section	.text._ZL31rocblas_geam_zero_matrix_deviceILi16ELi16EPKP19rocblas_complex_numIfEEviiT1_llli,"axG",@progbits,_ZL31rocblas_geam_zero_matrix_deviceILi16ELi16EPKP19rocblas_complex_numIfEEviiT1_llli,comdat
	.globl	_ZL31rocblas_geam_zero_matrix_deviceILi16ELi16EPKP19rocblas_complex_numIfEEviiT1_llli ; -- Begin function _ZL31rocblas_geam_zero_matrix_deviceILi16ELi16EPKP19rocblas_complex_numIfEEviiT1_llli
	.p2align	8
	.type	_ZL31rocblas_geam_zero_matrix_deviceILi16ELi16EPKP19rocblas_complex_numIfEEviiT1_llli,@function
_ZL31rocblas_geam_zero_matrix_deviceILi16ELi16EPKP19rocblas_complex_numIfEEviiT1_llli: ; @_ZL31rocblas_geam_zero_matrix_deviceILi16ELi16EPKP19rocblas_complex_numIfEEviiT1_llli
; %bb.0:
	s_load_b32 s2, s[0:1], 0x28
	s_bfe_u32 s3, ttmp6, 0x40014
	s_lshr_b32 s4, ttmp7, 16
	s_add_co_i32 s3, s3, 1
	s_bfe_u32 s5, ttmp6, 0x40008
	s_mul_i32 s3, s4, s3
	s_getreg_b32 s8, hwreg(HW_REG_IB_STS2, 6, 4)
	s_add_co_i32 s5, s5, s3
	s_cmp_eq_u32 s8, 0
	s_cselect_b32 s3, s4, s5
	s_wait_kmcnt 0x0
	s_cmp_ge_u32 s3, s2
	s_cbranch_scc1 .LBB54_5
; %bb.1:
	s_clause 0x1
	s_load_b64 s[10:11], s[0:1], 0x0
	s_load_b128 s[4:7], s[0:1], 0x8
	s_bfe_u32 s15, ttmp6, 0x4000c
	s_and_b32 s14, ttmp6, 15
	s_add_co_i32 s15, s15, 1
	s_wait_xcnt 0x0
	s_load_b64 s[0:1], s[0:1], 0x18
	s_mul_i32 s15, ttmp9, s15
	s_delay_alu instid0(SALU_CYCLE_1) | instskip(SKIP_2) | instid1(SALU_CYCLE_1)
	s_add_co_i32 s14, s14, s15
	s_wait_kmcnt 0x0
	s_add_co_i32 s9, s10, -1
	s_ashr_i32 s12, s9, 31
	s_delay_alu instid0(SALU_CYCLE_1) | instskip(NEXT) | instid1(SALU_CYCLE_1)
	s_lshr_b32 s12, s12, 28
	s_add_co_i32 s9, s9, s12
	s_delay_alu instid0(SALU_CYCLE_1) | instskip(NEXT) | instid1(SALU_CYCLE_1)
	s_ashr_i32 s9, s9, 4
	s_add_co_i32 s12, s9, 1
	s_not_b32 s9, s9
	s_cvt_f32_u32 s13, s12
	s_delay_alu instid0(SALU_CYCLE_3) | instskip(SKIP_1) | instid1(TRANS32_DEP_1)
	v_rcp_iflag_f32_e32 v1, s13
	v_nop
	v_readfirstlane_b32 s13, v1
	v_bfe_u32 v1, v0, 10, 10
	v_and_b32_e32 v0, 0x3ff, v0
	s_mul_f32 s13, s13, 0x4f7ffffe
	s_delay_alu instid0(SALU_CYCLE_3) | instskip(NEXT) | instid1(SALU_CYCLE_3)
	s_cvt_u32_f32 s13, s13
	s_mul_i32 s9, s9, s13
	s_delay_alu instid0(SALU_CYCLE_1) | instskip(NEXT) | instid1(SALU_CYCLE_1)
	s_mul_hi_u32 s9, s13, s9
	s_add_co_i32 s13, s13, s9
	s_cmp_eq_u32 s8, 0
	s_cselect_b32 s8, ttmp9, s14
	s_delay_alu instid0(SALU_CYCLE_1) | instskip(NEXT) | instid1(SALU_CYCLE_1)
	s_mul_hi_u32 s9, s8, s13
	s_mul_i32 s13, s9, s12
	s_add_co_i32 s14, s9, 1
	s_sub_co_i32 s13, s8, s13
	s_delay_alu instid0(SALU_CYCLE_1)
	s_sub_co_i32 s15, s13, s12
	s_cmp_ge_u32 s13, s12
	s_cselect_b32 s9, s14, s9
	s_cselect_b32 s13, s15, s13
	s_add_co_i32 s14, s9, 1
	s_cmp_ge_u32 s13, s12
	s_cselect_b32 s9, s14, s9
	s_delay_alu instid0(SALU_CYCLE_1) | instskip(SKIP_1) | instid1(VALU_DEP_1)
	v_lshl_add_u32 v4, s9, 4, v1
	s_mul_i32 s9, s9, s12
	v_ashrrev_i32_e32 v5, 31, v4
	s_delay_alu instid0(VALU_DEP_1) | instskip(SKIP_1) | instid1(SALU_CYCLE_1)
	v_mul_u64_e32 v[2:3], s[0:1], v[4:5]
	s_sub_co_i32 s0, s8, s9
	v_lshl_add_u32 v0, s0, 4, v0
	v_cmp_gt_i32_e64 s0, s11, v4
	v_mov_b64_e32 v[4:5], 0
	s_delay_alu instid0(VALU_DEP_3)
	v_cmp_gt_i32_e32 vcc_lo, s10, v0
	v_ashrrev_i32_e32 v1, 31, v0
	s_and_b32 s8, vcc_lo, s0
	s_lshl_b64 s[0:1], s[6:7], 3
	s_branch .LBB54_3
.LBB54_2:                               ;   in Loop: Header=BB54_3 Depth=1
	s_wait_xcnt 0x0
	s_or_b32 exec_lo, exec_lo, s6
	s_add_co_i32 s3, s3, 0x10000
	s_delay_alu instid0(SALU_CYCLE_1)
	s_cmp_lt_u32 s3, s2
	s_cbranch_scc0 .LBB54_5
.LBB54_3:                               ; =>This Inner Loop Header: Depth=1
	s_and_saveexec_b32 s6, s8
	s_cbranch_execz .LBB54_2
; %bb.4:                                ;   in Loop: Header=BB54_3 Depth=1
	v_mov_b32_e32 v6, s3
	global_load_b64 v[6:7], v6, s[4:5] scale_offset
	s_wait_loadcnt 0x0
	s_wait_xcnt 0x0
	v_add_nc_u64_e32 v[6:7], s[0:1], v[6:7]
	s_delay_alu instid0(VALU_DEP_1) | instskip(NEXT) | instid1(VALU_DEP_1)
	v_lshl_add_u64 v[6:7], v[2:3], 3, v[6:7]
	v_lshl_add_u64 v[6:7], v[0:1], 3, v[6:7]
	flat_store_b64 v[6:7], v[4:5]
	s_branch .LBB54_2
.LBB54_5:
	s_endpgm
	.section	.rodata,"a",@progbits
	.p2align	6, 0x0
	.amdhsa_kernel _ZL31rocblas_geam_zero_matrix_deviceILi16ELi16EPKP19rocblas_complex_numIfEEviiT1_llli
		.amdhsa_group_segment_fixed_size 0
		.amdhsa_private_segment_fixed_size 0
		.amdhsa_kernarg_size 44
		.amdhsa_user_sgpr_count 2
		.amdhsa_user_sgpr_dispatch_ptr 0
		.amdhsa_user_sgpr_queue_ptr 0
		.amdhsa_user_sgpr_kernarg_segment_ptr 1
		.amdhsa_user_sgpr_dispatch_id 0
		.amdhsa_user_sgpr_kernarg_preload_length 0
		.amdhsa_user_sgpr_kernarg_preload_offset 0
		.amdhsa_user_sgpr_private_segment_size 0
		.amdhsa_wavefront_size32 1
		.amdhsa_uses_dynamic_stack 0
		.amdhsa_enable_private_segment 0
		.amdhsa_system_sgpr_workgroup_id_x 1
		.amdhsa_system_sgpr_workgroup_id_y 0
		.amdhsa_system_sgpr_workgroup_id_z 1
		.amdhsa_system_sgpr_workgroup_info 0
		.amdhsa_system_vgpr_workitem_id 1
		.amdhsa_next_free_vgpr 8
		.amdhsa_next_free_sgpr 16
		.amdhsa_named_barrier_count 0
		.amdhsa_reserve_vcc 1
		.amdhsa_float_round_mode_32 0
		.amdhsa_float_round_mode_16_64 0
		.amdhsa_float_denorm_mode_32 3
		.amdhsa_float_denorm_mode_16_64 3
		.amdhsa_fp16_overflow 0
		.amdhsa_memory_ordered 1
		.amdhsa_forward_progress 1
		.amdhsa_inst_pref_size 4
		.amdhsa_round_robin_scheduling 0
		.amdhsa_exception_fp_ieee_invalid_op 0
		.amdhsa_exception_fp_denorm_src 0
		.amdhsa_exception_fp_ieee_div_zero 0
		.amdhsa_exception_fp_ieee_overflow 0
		.amdhsa_exception_fp_ieee_underflow 0
		.amdhsa_exception_fp_ieee_inexact 0
		.amdhsa_exception_int_div_zero 0
	.end_amdhsa_kernel
	.section	.text._ZL31rocblas_geam_zero_matrix_deviceILi16ELi16EPKP19rocblas_complex_numIfEEviiT1_llli,"axG",@progbits,_ZL31rocblas_geam_zero_matrix_deviceILi16ELi16EPKP19rocblas_complex_numIfEEviiT1_llli,comdat
.Lfunc_end54:
	.size	_ZL31rocblas_geam_zero_matrix_deviceILi16ELi16EPKP19rocblas_complex_numIfEEviiT1_llli, .Lfunc_end54-_ZL31rocblas_geam_zero_matrix_deviceILi16ELi16EPKP19rocblas_complex_numIfEEviiT1_llli
                                        ; -- End function
	.set _ZL31rocblas_geam_zero_matrix_deviceILi16ELi16EPKP19rocblas_complex_numIfEEviiT1_llli.num_vgpr, 8
	.set _ZL31rocblas_geam_zero_matrix_deviceILi16ELi16EPKP19rocblas_complex_numIfEEviiT1_llli.num_agpr, 0
	.set _ZL31rocblas_geam_zero_matrix_deviceILi16ELi16EPKP19rocblas_complex_numIfEEviiT1_llli.numbered_sgpr, 16
	.set _ZL31rocblas_geam_zero_matrix_deviceILi16ELi16EPKP19rocblas_complex_numIfEEviiT1_llli.num_named_barrier, 0
	.set _ZL31rocblas_geam_zero_matrix_deviceILi16ELi16EPKP19rocblas_complex_numIfEEviiT1_llli.private_seg_size, 0
	.set _ZL31rocblas_geam_zero_matrix_deviceILi16ELi16EPKP19rocblas_complex_numIfEEviiT1_llli.uses_vcc, 1
	.set _ZL31rocblas_geam_zero_matrix_deviceILi16ELi16EPKP19rocblas_complex_numIfEEviiT1_llli.uses_flat_scratch, 0
	.set _ZL31rocblas_geam_zero_matrix_deviceILi16ELi16EPKP19rocblas_complex_numIfEEviiT1_llli.has_dyn_sized_stack, 0
	.set _ZL31rocblas_geam_zero_matrix_deviceILi16ELi16EPKP19rocblas_complex_numIfEEviiT1_llli.has_recursion, 0
	.set _ZL31rocblas_geam_zero_matrix_deviceILi16ELi16EPKP19rocblas_complex_numIfEEviiT1_llli.has_indirect_call, 0
	.section	.AMDGPU.csdata,"",@progbits
; Kernel info:
; codeLenInByte = 472
; TotalNumSgprs: 18
; NumVgprs: 8
; ScratchSize: 0
; MemoryBound: 0
; FloatMode: 240
; IeeeMode: 1
; LDSByteSize: 0 bytes/workgroup (compile time only)
; SGPRBlocks: 0
; VGPRBlocks: 0
; NumSGPRsForWavesPerEU: 18
; NumVGPRsForWavesPerEU: 8
; NamedBarCnt: 0
; Occupancy: 16
; WaveLimiterHint : 1
; COMPUTE_PGM_RSRC2:SCRATCH_EN: 0
; COMPUTE_PGM_RSRC2:USER_SGPR: 2
; COMPUTE_PGM_RSRC2:TRAP_HANDLER: 0
; COMPUTE_PGM_RSRC2:TGID_X_EN: 1
; COMPUTE_PGM_RSRC2:TGID_Y_EN: 0
; COMPUTE_PGM_RSRC2:TGID_Z_EN: 1
; COMPUTE_PGM_RSRC2:TIDIG_COMP_CNT: 1
	.section	.text._ZL27rocblas_geam_inplace_deviceILi16ELi16E19rocblas_complex_numIfEPKPKS1_PKPS1_Ev18rocblas_operation_iiT1_SA_T2_lllT3_llli,"axG",@progbits,_ZL27rocblas_geam_inplace_deviceILi16ELi16E19rocblas_complex_numIfEPKPKS1_PKPS1_Ev18rocblas_operation_iiT1_SA_T2_lllT3_llli,comdat
	.globl	_ZL27rocblas_geam_inplace_deviceILi16ELi16E19rocblas_complex_numIfEPKPKS1_PKPS1_Ev18rocblas_operation_iiT1_SA_T2_lllT3_llli ; -- Begin function _ZL27rocblas_geam_inplace_deviceILi16ELi16E19rocblas_complex_numIfEPKPKS1_PKPS1_Ev18rocblas_operation_iiT1_SA_T2_lllT3_llli
	.p2align	8
	.type	_ZL27rocblas_geam_inplace_deviceILi16ELi16E19rocblas_complex_numIfEPKPKS1_PKPS1_Ev18rocblas_operation_iiT1_SA_T2_lllT3_llli,@function
_ZL27rocblas_geam_inplace_deviceILi16ELi16E19rocblas_complex_numIfEPKPKS1_PKPS1_Ev18rocblas_operation_iiT1_SA_T2_lllT3_llli: ; @_ZL27rocblas_geam_inplace_deviceILi16ELi16E19rocblas_complex_numIfEPKPKS1_PKPS1_Ev18rocblas_operation_iiT1_SA_T2_lllT3_llli
; %bb.0:
	s_load_b32 s18, s[0:1], 0x60
	s_bfe_u32 s2, ttmp6, 0x40014
	s_lshr_b32 s3, ttmp7, 16
	s_add_co_i32 s2, s2, 1
	s_bfe_u32 s5, ttmp6, 0x40008
	s_mul_i32 s4, s3, s2
	s_getreg_b32 s2, hwreg(HW_REG_IB_STS2, 6, 4)
	s_add_co_i32 s5, s5, s4
	s_cmp_eq_u32 s2, 0
	s_mov_b32 s17, 0
	s_cselect_b32 s16, s3, s5
	s_wait_kmcnt 0x0
	s_cmp_ge_u32 s16, s18
	s_cbranch_scc1 .LBB55_14
; %bb.1:
	s_clause 0x1
	s_load_b96 s[12:14], s[0:1], 0x0
	s_load_b128 s[4:7], s[0:1], 0xc
	s_bfe_u32 s11, ttmp6, 0x4000c
	s_and_b32 s10, ttmp6, 15
	s_add_co_i32 s11, s11, 1
	s_load_b64 s[22:23], s[0:1], 0x30
	s_mul_i32 s11, ttmp9, s11
	s_load_b64 s[24:25], s[0:1], 0x50
	s_add_co_i32 s10, s10, s11
	s_wait_kmcnt 0x0
	s_add_co_i32 s3, s13, -1
	s_delay_alu instid0(SALU_CYCLE_1) | instskip(NEXT) | instid1(SALU_CYCLE_1)
	s_ashr_i32 s8, s3, 31
	s_lshr_b32 s8, s8, 28
	s_delay_alu instid0(SALU_CYCLE_1) | instskip(NEXT) | instid1(SALU_CYCLE_1)
	s_add_co_i32 s3, s3, s8
	s_ashr_i32 s3, s3, 4
	s_delay_alu instid0(SALU_CYCLE_1) | instskip(SKIP_2) | instid1(SALU_CYCLE_3)
	s_add_co_i32 s8, s3, 1
	s_not_b32 s3, s3
	s_cvt_f32_u32 s9, s8
	v_rcp_iflag_f32_e32 v1, s9
	v_nop
	s_delay_alu instid0(TRANS32_DEP_1) | instskip(SKIP_3) | instid1(SALU_CYCLE_3)
	v_readfirstlane_b32 s9, v1
	v_bfe_u32 v1, v0, 10, 10
	v_and_b32_e32 v0, 0x3ff, v0
	s_mul_f32 s9, s9, 0x4f7ffffe
	s_cvt_u32_f32 s9, s9
	s_delay_alu instid0(SALU_CYCLE_3) | instskip(NEXT) | instid1(SALU_CYCLE_1)
	s_mul_i32 s3, s3, s9
	s_mul_hi_u32 s3, s9, s3
	s_delay_alu instid0(SALU_CYCLE_1) | instskip(SKIP_2) | instid1(SALU_CYCLE_1)
	s_add_co_i32 s9, s9, s3
	s_cmp_eq_u32 s2, 0
	s_cselect_b32 s2, ttmp9, s10
	s_mul_hi_u32 s3, s2, s9
	s_delay_alu instid0(SALU_CYCLE_1) | instskip(SKIP_2) | instid1(SALU_CYCLE_1)
	s_mul_i32 s9, s3, s8
	s_add_co_i32 s10, s3, 1
	s_sub_co_i32 s9, s2, s9
	s_sub_co_i32 s11, s9, s8
	s_cmp_ge_u32 s9, s8
	s_cselect_b32 s3, s10, s3
	s_cselect_b32 s9, s11, s9
	s_add_co_i32 s10, s3, 1
	s_cmp_ge_u32 s9, s8
	s_cselect_b32 s3, s10, s3
	s_delay_alu instid0(SALU_CYCLE_1)
	s_mul_i32 s8, s3, s8
	v_lshl_add_u32 v2, s3, 4, v1
	s_sub_co_i32 s2, s2, s8
	s_load_b128 s[8:11], s[0:1], 0x40
	v_lshl_add_u32 v4, s2, 4, v0
	s_or_b32 s3, s6, s7
	v_ashrrev_i32_e32 v3, 31, v2
	v_cmp_gt_i32_e32 vcc_lo, s14, v2
	s_bitset0_b32 s3, 31
	v_ashrrev_i32_e32 v5, 31, v4
	v_cmp_gt_i32_e64 s2, s13, v4
	v_mad_nc_u64_u32 v[6:7], s22, v4, v[2:3]
	s_mov_b32 s13, s6
	s_mov_b32 s14, s5
	v_mad_nc_u64_u32 v[10:11], s22, v2, v[4:5]
	v_mad_nc_u64_u32 v[0:1], s24, v2, v[4:5]
	s_and_b32 s19, s2, vcc_lo
	s_cmp_lg_u32 s3, 0
	s_wait_xcnt 0x0
	s_load_b128 s[0:3], s[0:1], 0x20
	s_cselect_b32 s20, -1, 0
	s_cmp_eq_u32 s12, 0x6f
	v_mad_u32 v4, s23, v4, v7
	s_cselect_b32 vcc_lo, -1, 0
	s_cmp_eq_u32 s12, 0x71
	v_mad_u32 v7, s23, v2, v11
	v_mad_u32 v1, s25, v2, v1
	s_cselect_b32 s21, -1, 0
	s_cmp_neq_f32 s4, 0
	s_mov_b32 s12, s7
	s_cselect_b32 s15, -1, 0
	s_delay_alu instid0(VALU_DEP_3) | instskip(SKIP_1) | instid1(VALU_DEP_3)
	v_mad_u32 v2, s22, v5, v4
	s_cmp_neq_f32 s5, 0
	v_mad_u32 v4, s22, v3, v7
	s_delay_alu instid0(VALU_DEP_3)
	v_mad_u32 v1, s24, v3, v1
	v_mov_b32_e32 v8, 0
	s_cselect_b32 s22, -1, 0
	s_wait_kmcnt 0x0
	s_lshl_b64 s[10:11], s[10:11], 3
	s_or_b32 s22, s15, s22
	s_mov_b32 s15, s4
	s_lshl_b64 s[2:3], s[2:3], 3
	s_delay_alu instid0(VALU_DEP_3)
	v_cndmask_b32_e32 v3, v2, v4, vcc_lo
	v_cndmask_b32_e32 v2, v6, v10, vcc_lo
	s_branch .LBB55_4
.LBB55_2:                               ;   in Loop: Header=BB55_4 Depth=1
	flat_store_b64 v[4:5], v[6:7]
.LBB55_3:                               ;   in Loop: Header=BB55_4 Depth=1
	s_wait_xcnt 0x0
	s_or_b32 exec_lo, exec_lo, s23
	s_add_co_i32 s16, s16, 0x10000
	s_delay_alu instid0(SALU_CYCLE_1)
	s_cmp_lt_u32 s16, s18
	s_cbranch_scc0 .LBB55_14
.LBB55_4:                               ; =>This Inner Loop Header: Depth=1
	s_and_saveexec_b32 s23, s19
	s_cbranch_execz .LBB55_3
; %bb.5:                                ;   in Loop: Header=BB55_4 Depth=1
	v_mov_b32_e32 v4, s16
	s_and_b32 vcc_lo, exec_lo, s20
	s_mov_b32 s24, -1
	global_load_b64 v[4:5], v4, s[8:9] scale_offset
	s_wait_loadcnt 0x0
	s_wait_xcnt 0x0
	v_add_nc_u64_e32 v[4:5], s[10:11], v[4:5]
	s_delay_alu instid0(VALU_DEP_1)
	v_lshl_add_u64 v[4:5], v[0:1], 3, v[4:5]
	s_cbranch_vccz .LBB55_11
; %bb.6:                                ;   in Loop: Header=BB55_4 Depth=1
	s_lshl_b64 s[24:25], s[16:17], 3
	v_mov_b64_e32 v[10:11], s[12:13]
	s_add_nc_u64 s[24:25], s[0:1], s[24:25]
	v_mov_b64_e32 v[14:15], s[6:7]
	global_load_b64 v[6:7], v8, s[24:25]
	s_and_b32 vcc_lo, exec_lo, s22
	s_wait_xcnt 0x0
	s_mov_b32 s24, -1
	s_wait_loadcnt 0x0
	v_add_nc_u64_e32 v[6:7], s[2:3], v[6:7]
	s_delay_alu instid0(VALU_DEP_1) | instskip(SKIP_3) | instid1(VALU_DEP_1)
	v_lshl_add_u64 v[6:7], v[2:3], 3, v[6:7]
	flat_load_b64 v[6:7], v[6:7]
	s_wait_loadcnt_dscnt 0x0
	v_cndmask_b32_e64 v12, v7, -v7, s21
	v_pk_mul_f32 v[10:11], v[12:13], v[10:11] op_sel_hi:[0,1]
	s_delay_alu instid0(VALU_DEP_1) | instskip(SKIP_2) | instid1(VALU_DEP_2)
	v_pk_fma_f32 v[12:13], v[6:7], v[14:15], v[10:11] op_sel_hi:[0,1,1]
	s_wait_xcnt 0x0
	v_pk_fma_f32 v[6:7], v[6:7], v[14:15], v[10:11] neg_lo:[0,0,1] neg_hi:[0,0,1]
	v_mov_b32_e32 v7, v13
	s_cbranch_vccz .LBB55_8
; %bb.7:                                ;   in Loop: Header=BB55_4 Depth=1
	flat_load_b64 v[10:11], v[4:5]
	v_mov_b64_e32 v[12:13], s[14:15]
	v_mov_b64_e32 v[14:15], s[4:5]
	s_mov_b32 s24, 0
	s_wait_loadcnt_dscnt 0x0
	s_delay_alu instid0(VALU_DEP_2) | instskip(NEXT) | instid1(VALU_DEP_1)
	v_pk_mul_f32 v[12:13], v[10:11], v[12:13] op_sel:[1,0]
	v_pk_fma_f32 v[16:17], v[10:11], v[14:15], v[12:13] op_sel_hi:[0,1,1]
	v_pk_fma_f32 v[10:11], v[10:11], v[14:15], v[12:13] neg_lo:[0,0,1] neg_hi:[0,0,1]
	s_delay_alu instid0(VALU_DEP_2) | instskip(NEXT) | instid1(VALU_DEP_1)
	v_mov_b32_e32 v11, v17
	v_pk_add_f32 v[10:11], v[6:7], v[10:11]
	flat_store_b64 v[4:5], v[10:11]
.LBB55_8:                               ;   in Loop: Header=BB55_4 Depth=1
	s_and_not1_b32 vcc_lo, exec_lo, s24
	s_cbranch_vccnz .LBB55_10
; %bb.9:                                ;   in Loop: Header=BB55_4 Depth=1
	flat_store_b64 v[4:5], v[6:7]
.LBB55_10:                              ;   in Loop: Header=BB55_4 Depth=1
	s_mov_b32 s24, 0
.LBB55_11:                              ;   in Loop: Header=BB55_4 Depth=1
	s_delay_alu instid0(SALU_CYCLE_1)
	s_and_not1_b32 vcc_lo, exec_lo, s24
	s_cbranch_vccnz .LBB55_3
; %bb.12:                               ;   in Loop: Header=BB55_4 Depth=1
	s_wait_xcnt 0x0
	v_dual_mov_b32 v6, 0 :: v_dual_mov_b32 v7, 0
	s_and_not1_b32 vcc_lo, exec_lo, s22
	s_cbranch_vccnz .LBB55_2
; %bb.13:                               ;   in Loop: Header=BB55_4 Depth=1
	flat_load_b64 v[6:7], v[4:5]
	v_mov_b64_e32 v[10:11], s[14:15]
	v_mov_b64_e32 v[12:13], s[4:5]
	s_wait_loadcnt_dscnt 0x0
	s_delay_alu instid0(VALU_DEP_2) | instskip(NEXT) | instid1(VALU_DEP_1)
	v_pk_mul_f32 v[10:11], v[6:7], v[10:11] op_sel:[1,0]
	v_pk_fma_f32 v[14:15], v[6:7], v[12:13], v[10:11] op_sel_hi:[0,1,1]
	v_pk_fma_f32 v[6:7], v[6:7], v[12:13], v[10:11] neg_lo:[0,0,1] neg_hi:[0,0,1]
	s_delay_alu instid0(VALU_DEP_2)
	v_mov_b32_e32 v7, v15
	s_branch .LBB55_2
.LBB55_14:
	s_endpgm
	.section	.rodata,"a",@progbits
	.p2align	6, 0x0
	.amdhsa_kernel _ZL27rocblas_geam_inplace_deviceILi16ELi16E19rocblas_complex_numIfEPKPKS1_PKPS1_Ev18rocblas_operation_iiT1_SA_T2_lllT3_llli
		.amdhsa_group_segment_fixed_size 0
		.amdhsa_private_segment_fixed_size 0
		.amdhsa_kernarg_size 100
		.amdhsa_user_sgpr_count 2
		.amdhsa_user_sgpr_dispatch_ptr 0
		.amdhsa_user_sgpr_queue_ptr 0
		.amdhsa_user_sgpr_kernarg_segment_ptr 1
		.amdhsa_user_sgpr_dispatch_id 0
		.amdhsa_user_sgpr_kernarg_preload_length 0
		.amdhsa_user_sgpr_kernarg_preload_offset 0
		.amdhsa_user_sgpr_private_segment_size 0
		.amdhsa_wavefront_size32 1
		.amdhsa_uses_dynamic_stack 0
		.amdhsa_enable_private_segment 0
		.amdhsa_system_sgpr_workgroup_id_x 1
		.amdhsa_system_sgpr_workgroup_id_y 0
		.amdhsa_system_sgpr_workgroup_id_z 1
		.amdhsa_system_sgpr_workgroup_info 0
		.amdhsa_system_vgpr_workitem_id 1
		.amdhsa_next_free_vgpr 18
		.amdhsa_next_free_sgpr 26
		.amdhsa_named_barrier_count 0
		.amdhsa_reserve_vcc 1
		.amdhsa_float_round_mode_32 0
		.amdhsa_float_round_mode_16_64 0
		.amdhsa_float_denorm_mode_32 3
		.amdhsa_float_denorm_mode_16_64 3
		.amdhsa_fp16_overflow 0
		.amdhsa_memory_ordered 1
		.amdhsa_forward_progress 1
		.amdhsa_inst_pref_size 8
		.amdhsa_round_robin_scheduling 0
		.amdhsa_exception_fp_ieee_invalid_op 0
		.amdhsa_exception_fp_denorm_src 0
		.amdhsa_exception_fp_ieee_div_zero 0
		.amdhsa_exception_fp_ieee_overflow 0
		.amdhsa_exception_fp_ieee_underflow 0
		.amdhsa_exception_fp_ieee_inexact 0
		.amdhsa_exception_int_div_zero 0
	.end_amdhsa_kernel
	.section	.text._ZL27rocblas_geam_inplace_deviceILi16ELi16E19rocblas_complex_numIfEPKPKS1_PKPS1_Ev18rocblas_operation_iiT1_SA_T2_lllT3_llli,"axG",@progbits,_ZL27rocblas_geam_inplace_deviceILi16ELi16E19rocblas_complex_numIfEPKPKS1_PKPS1_Ev18rocblas_operation_iiT1_SA_T2_lllT3_llli,comdat
.Lfunc_end55:
	.size	_ZL27rocblas_geam_inplace_deviceILi16ELi16E19rocblas_complex_numIfEPKPKS1_PKPS1_Ev18rocblas_operation_iiT1_SA_T2_lllT3_llli, .Lfunc_end55-_ZL27rocblas_geam_inplace_deviceILi16ELi16E19rocblas_complex_numIfEPKPKS1_PKPS1_Ev18rocblas_operation_iiT1_SA_T2_lllT3_llli
                                        ; -- End function
	.set _ZL27rocblas_geam_inplace_deviceILi16ELi16E19rocblas_complex_numIfEPKPKS1_PKPS1_Ev18rocblas_operation_iiT1_SA_T2_lllT3_llli.num_vgpr, 18
	.set _ZL27rocblas_geam_inplace_deviceILi16ELi16E19rocblas_complex_numIfEPKPKS1_PKPS1_Ev18rocblas_operation_iiT1_SA_T2_lllT3_llli.num_agpr, 0
	.set _ZL27rocblas_geam_inplace_deviceILi16ELi16E19rocblas_complex_numIfEPKPKS1_PKPS1_Ev18rocblas_operation_iiT1_SA_T2_lllT3_llli.numbered_sgpr, 26
	.set _ZL27rocblas_geam_inplace_deviceILi16ELi16E19rocblas_complex_numIfEPKPKS1_PKPS1_Ev18rocblas_operation_iiT1_SA_T2_lllT3_llli.num_named_barrier, 0
	.set _ZL27rocblas_geam_inplace_deviceILi16ELi16E19rocblas_complex_numIfEPKPKS1_PKPS1_Ev18rocblas_operation_iiT1_SA_T2_lllT3_llli.private_seg_size, 0
	.set _ZL27rocblas_geam_inplace_deviceILi16ELi16E19rocblas_complex_numIfEPKPKS1_PKPS1_Ev18rocblas_operation_iiT1_SA_T2_lllT3_llli.uses_vcc, 1
	.set _ZL27rocblas_geam_inplace_deviceILi16ELi16E19rocblas_complex_numIfEPKPKS1_PKPS1_Ev18rocblas_operation_iiT1_SA_T2_lllT3_llli.uses_flat_scratch, 0
	.set _ZL27rocblas_geam_inplace_deviceILi16ELi16E19rocblas_complex_numIfEPKPKS1_PKPS1_Ev18rocblas_operation_iiT1_SA_T2_lllT3_llli.has_dyn_sized_stack, 0
	.set _ZL27rocblas_geam_inplace_deviceILi16ELi16E19rocblas_complex_numIfEPKPKS1_PKPS1_Ev18rocblas_operation_iiT1_SA_T2_lllT3_llli.has_recursion, 0
	.set _ZL27rocblas_geam_inplace_deviceILi16ELi16E19rocblas_complex_numIfEPKPKS1_PKPS1_Ev18rocblas_operation_iiT1_SA_T2_lllT3_llli.has_indirect_call, 0
	.section	.AMDGPU.csdata,"",@progbits
; Kernel info:
; codeLenInByte = 988
; TotalNumSgprs: 28
; NumVgprs: 18
; ScratchSize: 0
; MemoryBound: 0
; FloatMode: 240
; IeeeMode: 1
; LDSByteSize: 0 bytes/workgroup (compile time only)
; SGPRBlocks: 0
; VGPRBlocks: 1
; NumSGPRsForWavesPerEU: 28
; NumVGPRsForWavesPerEU: 18
; NamedBarCnt: 0
; Occupancy: 16
; WaveLimiterHint : 1
; COMPUTE_PGM_RSRC2:SCRATCH_EN: 0
; COMPUTE_PGM_RSRC2:USER_SGPR: 2
; COMPUTE_PGM_RSRC2:TRAP_HANDLER: 0
; COMPUTE_PGM_RSRC2:TGID_X_EN: 1
; COMPUTE_PGM_RSRC2:TGID_Y_EN: 0
; COMPUTE_PGM_RSRC2:TGID_Z_EN: 1
; COMPUTE_PGM_RSRC2:TIDIG_COMP_CNT: 1
	.section	.text._ZL27rocblas_geam_inplace_deviceILi16ELi16EPK19rocblas_complex_numIfEPKS3_PKPS1_Ev18rocblas_operation_iiT1_SA_T2_lllT3_llli,"axG",@progbits,_ZL27rocblas_geam_inplace_deviceILi16ELi16EPK19rocblas_complex_numIfEPKS3_PKPS1_Ev18rocblas_operation_iiT1_SA_T2_lllT3_llli,comdat
	.globl	_ZL27rocblas_geam_inplace_deviceILi16ELi16EPK19rocblas_complex_numIfEPKS3_PKPS1_Ev18rocblas_operation_iiT1_SA_T2_lllT3_llli ; -- Begin function _ZL27rocblas_geam_inplace_deviceILi16ELi16EPK19rocblas_complex_numIfEPKS3_PKPS1_Ev18rocblas_operation_iiT1_SA_T2_lllT3_llli
	.p2align	8
	.type	_ZL27rocblas_geam_inplace_deviceILi16ELi16EPK19rocblas_complex_numIfEPKS3_PKPS1_Ev18rocblas_operation_iiT1_SA_T2_lllT3_llli,@function
_ZL27rocblas_geam_inplace_deviceILi16ELi16EPK19rocblas_complex_numIfEPKS3_PKPS1_Ev18rocblas_operation_iiT1_SA_T2_lllT3_llli: ; @_ZL27rocblas_geam_inplace_deviceILi16ELi16EPK19rocblas_complex_numIfEPKS3_PKPS1_Ev18rocblas_operation_iiT1_SA_T2_lllT3_llli
; %bb.0:
	s_load_b32 s19, s[0:1], 0x60
	s_bfe_u32 s2, ttmp6, 0x40014
	s_lshr_b32 s3, ttmp7, 16
	s_add_co_i32 s2, s2, 1
	s_bfe_u32 s5, ttmp6, 0x40008
	s_mul_i32 s2, s3, s2
	s_getreg_b32 s4, hwreg(HW_REG_IB_STS2, 6, 4)
	s_add_co_i32 s5, s5, s2
	s_cmp_eq_u32 s4, 0
	s_cselect_b32 s2, s3, s5
	s_mov_b32 s3, 0
	s_wait_kmcnt 0x0
	s_cmp_ge_u32 s2, s19
	s_cbranch_scc1 .LBB56_14
; %bb.1:
	s_clause 0x1
	s_load_b96 s[16:18], s[0:1], 0x0
	s_load_b64 s[20:21], s[0:1], 0x30
	s_bfe_u32 s9, ttmp6, 0x4000c
	s_and_b32 s8, ttmp6, 15
	s_add_co_i32 s9, s9, 1
	s_clause 0x1
	s_load_b64 s[22:23], s[0:1], 0x50
	s_load_b128 s[12:15], s[0:1], 0x40
	s_mul_i32 s9, ttmp9, s9
	v_mov_b32_e32 v10, 0
	s_add_co_i32 s8, s8, s9
	s_wait_kmcnt 0x0
	s_add_co_i32 s5, s17, -1
	s_delay_alu instid0(SALU_CYCLE_1) | instskip(NEXT) | instid1(SALU_CYCLE_1)
	s_ashr_i32 s6, s5, 31
	s_lshr_b32 s6, s6, 28
	s_delay_alu instid0(SALU_CYCLE_1) | instskip(NEXT) | instid1(SALU_CYCLE_1)
	s_add_co_i32 s5, s5, s6
	s_ashr_i32 s5, s5, 4
	s_delay_alu instid0(SALU_CYCLE_1) | instskip(SKIP_2) | instid1(SALU_CYCLE_3)
	s_add_co_i32 s6, s5, 1
	s_not_b32 s5, s5
	s_cvt_f32_u32 s7, s6
	v_rcp_iflag_f32_e32 v1, s7
	v_nop
	s_delay_alu instid0(TRANS32_DEP_1) | instskip(SKIP_3) | instid1(SALU_CYCLE_3)
	v_readfirstlane_b32 s7, v1
	v_bfe_u32 v1, v0, 10, 10
	v_and_b32_e32 v0, 0x3ff, v0
	s_mul_f32 s7, s7, 0x4f7ffffe
	s_cvt_u32_f32 s7, s7
	s_delay_alu instid0(SALU_CYCLE_3) | instskip(NEXT) | instid1(SALU_CYCLE_1)
	s_mul_i32 s5, s5, s7
	s_mul_hi_u32 s5, s7, s5
	s_delay_alu instid0(SALU_CYCLE_1) | instskip(SKIP_2) | instid1(SALU_CYCLE_1)
	s_add_co_i32 s7, s7, s5
	s_cmp_eq_u32 s4, 0
	s_cselect_b32 s4, ttmp9, s8
	s_mul_hi_u32 s5, s4, s7
	s_delay_alu instid0(SALU_CYCLE_1) | instskip(SKIP_2) | instid1(SALU_CYCLE_1)
	s_mul_i32 s7, s5, s6
	s_add_co_i32 s8, s5, 1
	s_sub_co_i32 s7, s4, s7
	s_sub_co_i32 s9, s7, s6
	s_cmp_ge_u32 s7, s6
	s_cselect_b32 s5, s8, s5
	s_cselect_b32 s7, s9, s7
	s_add_co_i32 s8, s5, 1
	s_cmp_ge_u32 s7, s6
	s_cselect_b32 s5, s8, s5
	s_delay_alu instid0(SALU_CYCLE_1) | instskip(SKIP_2) | instid1(SALU_CYCLE_1)
	s_mul_i32 s6, s5, s6
	v_lshl_add_u32 v2, s5, 4, v1
	s_sub_co_i32 s4, s4, s6
	v_lshl_add_u32 v4, s4, 4, v0
	s_load_b256 s[4:11], s[0:1], 0x10
	s_delay_alu instid0(VALU_DEP_2) | instskip(SKIP_1) | instid1(VALU_DEP_3)
	v_ashrrev_i32_e32 v3, 31, v2
	v_cmp_gt_i32_e32 vcc_lo, s18, v2
	v_ashrrev_i32_e32 v5, 31, v4
	s_wait_xcnt 0x0
	v_cmp_gt_i32_e64 s0, s17, v4
	v_mad_nc_u64_u32 v[6:7], s20, v4, v[2:3]
	s_delay_alu instid0(VALU_DEP_3)
	v_mad_nc_u64_u32 v[8:9], s20, v2, v[4:5]
	v_mad_nc_u64_u32 v[0:1], s22, v2, v[4:5]
	s_and_b32 s1, s0, vcc_lo
	s_cmp_eq_u32 s16, 0x6f
	s_cselect_b32 vcc_lo, -1, 0
	s_cmp_eq_u32 s16, 0x71
	s_delay_alu instid0(VALU_DEP_3) | instskip(SKIP_2) | instid1(VALU_DEP_3)
	v_mad_u32 v7, s21, v4, v7
	s_cselect_b32 s16, -1, 0
	s_lshl_b64 s[14:15], s[14:15], 3
	v_mad_u32 v9, s21, v2, v9
	s_delay_alu instid0(VALU_DEP_3) | instskip(SKIP_2) | instid1(VALU_DEP_3)
	v_mad_u32 v1, s23, v2, v1
	s_wait_kmcnt 0x0
	s_lshl_b64 s[10:11], s[10:11], 3
	v_mad_u32 v2, s20, v5, v7
	s_delay_alu instid0(VALU_DEP_3) | instskip(NEXT) | instid1(VALU_DEP_3)
	v_mad_u32 v5, s20, v3, v9
	v_mad_u32 v1, s22, v3, v1
	s_delay_alu instid0(VALU_DEP_2)
	v_cndmask_b32_e32 v3, v2, v5, vcc_lo
	v_cndmask_b32_e32 v2, v6, v8, vcc_lo
	s_branch .LBB56_4
.LBB56_2:                               ;   in Loop: Header=BB56_4 Depth=1
	flat_store_b64 v[4:5], v[8:9]
.LBB56_3:                               ;   in Loop: Header=BB56_4 Depth=1
	s_wait_xcnt 0x0
	s_or_b32 exec_lo, exec_lo, s17
	s_add_co_i32 s2, s2, 0x10000
	s_delay_alu instid0(SALU_CYCLE_1)
	s_cmp_lt_u32 s2, s19
	s_cbranch_scc0 .LBB56_14
.LBB56_4:                               ; =>This Inner Loop Header: Depth=1
	s_and_saveexec_b32 s17, s1
	s_cbranch_execz .LBB56_3
; %bb.5:                                ;   in Loop: Header=BB56_4 Depth=1
	global_load_b64 v[8:9], v10, s[6:7]
	v_mov_b32_e32 v11, s2
	s_mov_b32 s0, -1
	global_load_b64 v[4:5], v11, s[12:13] scale_offset
	s_wait_loadcnt 0x2
	global_load_b64 v[6:7], v10, s[4:5]
	s_wait_loadcnt 0x2
	s_wait_xcnt 0x1
	v_or_b32_e32 v11, v8, v9
	s_wait_loadcnt 0x1
	v_add_nc_u64_e32 v[4:5], s[14:15], v[4:5]
	s_delay_alu instid0(VALU_DEP_2) | instskip(NEXT) | instid1(VALU_DEP_1)
	v_and_b32_e32 v11, 0x7fffffff, v11
	v_cmp_ne_u32_e32 vcc_lo, 0, v11
	s_delay_alu instid0(VALU_DEP_3)
	v_lshl_add_u64 v[4:5], v[0:1], 3, v[4:5]
	s_cbranch_vccz .LBB56_11
; %bb.6:                                ;   in Loop: Header=BB56_4 Depth=1
	s_lshl_b64 s[20:21], s[2:3], 3
	s_wait_loadcnt 0x0
	v_cmp_eq_f32_e32 vcc_lo, 0, v6
	s_add_nc_u64 s[20:21], s[8:9], s[20:21]
	v_cmp_eq_f32_e64 s0, 0, v7
	global_load_b64 v[12:13], v10, s[20:21]
	s_and_b32 s0, vcc_lo, s0
	s_delay_alu instid0(SALU_CYCLE_1) | instskip(SKIP_3) | instid1(VALU_DEP_1)
	s_and_not1_b32 vcc_lo, exec_lo, s0
	s_mov_b32 s0, -1
	s_wait_loadcnt 0x0
	v_add_nc_u64_e32 v[12:13], s[10:11], v[12:13]
	v_lshl_add_u64 v[12:13], v[2:3], 3, v[12:13]
	flat_load_b64 v[12:13], v[12:13]
	s_wait_loadcnt_dscnt 0x0
	v_cndmask_b32_e64 v14, v13, -v13, s16
	s_delay_alu instid0(VALU_DEP_1) | instskip(NEXT) | instid1(VALU_DEP_1)
	v_pk_mul_f32 v[14:15], v[14:15], v[8:9] op_sel:[0,1] op_sel_hi:[0,0]
	v_pk_fma_f32 v[16:17], v[12:13], v[8:9], v[14:15] op_sel_hi:[0,1,1]
	v_pk_fma_f32 v[8:9], v[12:13], v[8:9], v[14:15] neg_lo:[0,0,1] neg_hi:[0,0,1]
	s_delay_alu instid0(VALU_DEP_2)
	v_mov_b32_e32 v9, v17
	s_cbranch_vccz .LBB56_8
; %bb.7:                                ;   in Loop: Header=BB56_4 Depth=1
	flat_load_b64 v[12:13], v[4:5]
	s_mov_b32 s0, 0
	s_wait_loadcnt_dscnt 0x0
	v_pk_mul_f32 v[14:15], v[12:13], v[6:7] op_sel:[1,1] op_sel_hi:[1,0]
	s_delay_alu instid0(VALU_DEP_1) | instskip(SKIP_1) | instid1(VALU_DEP_2)
	v_pk_fma_f32 v[16:17], v[12:13], v[6:7], v[14:15] op_sel_hi:[0,1,1]
	v_pk_fma_f32 v[12:13], v[12:13], v[6:7], v[14:15] neg_lo:[0,0,1] neg_hi:[0,0,1]
	v_mov_b32_e32 v13, v17
	s_delay_alu instid0(VALU_DEP_1)
	v_pk_add_f32 v[12:13], v[8:9], v[12:13]
	flat_store_b64 v[4:5], v[12:13]
.LBB56_8:                               ;   in Loop: Header=BB56_4 Depth=1
	s_and_not1_b32 vcc_lo, exec_lo, s0
	s_cbranch_vccnz .LBB56_10
; %bb.9:                                ;   in Loop: Header=BB56_4 Depth=1
	flat_store_b64 v[4:5], v[8:9]
.LBB56_10:                              ;   in Loop: Header=BB56_4 Depth=1
	s_mov_b32 s0, 0
.LBB56_11:                              ;   in Loop: Header=BB56_4 Depth=1
	s_delay_alu instid0(SALU_CYCLE_1)
	s_and_not1_b32 vcc_lo, exec_lo, s0
	s_cbranch_vccnz .LBB56_3
; %bb.12:                               ;   in Loop: Header=BB56_4 Depth=1
	s_wait_loadcnt 0x0
	v_cmp_neq_f32_e32 vcc_lo, 0, v6
	v_cmp_neq_f32_e64 s0, 0, v7
	s_wait_xcnt 0x0
	v_dual_mov_b32 v8, 0 :: v_dual_mov_b32 v9, 0
	s_or_b32 s0, vcc_lo, s0
	s_delay_alu instid0(SALU_CYCLE_1)
	s_and_not1_b32 vcc_lo, exec_lo, s0
	s_cbranch_vccnz .LBB56_2
; %bb.13:                               ;   in Loop: Header=BB56_4 Depth=1
	flat_load_b64 v[8:9], v[4:5]
	s_wait_loadcnt_dscnt 0x0
	v_pk_mul_f32 v[12:13], v[8:9], v[6:7] op_sel:[1,1] op_sel_hi:[1,0]
	s_delay_alu instid0(VALU_DEP_1) | instskip(SKIP_1) | instid1(VALU_DEP_2)
	v_pk_fma_f32 v[14:15], v[8:9], v[6:7], v[12:13] op_sel_hi:[0,1,1]
	v_pk_fma_f32 v[8:9], v[8:9], v[6:7], v[12:13] neg_lo:[0,0,1] neg_hi:[0,0,1]
	v_mov_b32_e32 v9, v15
	s_branch .LBB56_2
.LBB56_14:
	s_endpgm
	.section	.rodata,"a",@progbits
	.p2align	6, 0x0
	.amdhsa_kernel _ZL27rocblas_geam_inplace_deviceILi16ELi16EPK19rocblas_complex_numIfEPKS3_PKPS1_Ev18rocblas_operation_iiT1_SA_T2_lllT3_llli
		.amdhsa_group_segment_fixed_size 0
		.amdhsa_private_segment_fixed_size 0
		.amdhsa_kernarg_size 100
		.amdhsa_user_sgpr_count 2
		.amdhsa_user_sgpr_dispatch_ptr 0
		.amdhsa_user_sgpr_queue_ptr 0
		.amdhsa_user_sgpr_kernarg_segment_ptr 1
		.amdhsa_user_sgpr_dispatch_id 0
		.amdhsa_user_sgpr_kernarg_preload_length 0
		.amdhsa_user_sgpr_kernarg_preload_offset 0
		.amdhsa_user_sgpr_private_segment_size 0
		.amdhsa_wavefront_size32 1
		.amdhsa_uses_dynamic_stack 0
		.amdhsa_enable_private_segment 0
		.amdhsa_system_sgpr_workgroup_id_x 1
		.amdhsa_system_sgpr_workgroup_id_y 0
		.amdhsa_system_sgpr_workgroup_id_z 1
		.amdhsa_system_sgpr_workgroup_info 0
		.amdhsa_system_vgpr_workitem_id 1
		.amdhsa_next_free_vgpr 18
		.amdhsa_next_free_sgpr 24
		.amdhsa_named_barrier_count 0
		.amdhsa_reserve_vcc 1
		.amdhsa_float_round_mode_32 0
		.amdhsa_float_round_mode_16_64 0
		.amdhsa_float_denorm_mode_32 3
		.amdhsa_float_denorm_mode_16_64 3
		.amdhsa_fp16_overflow 0
		.amdhsa_memory_ordered 1
		.amdhsa_forward_progress 1
		.amdhsa_inst_pref_size 8
		.amdhsa_round_robin_scheduling 0
		.amdhsa_exception_fp_ieee_invalid_op 0
		.amdhsa_exception_fp_denorm_src 0
		.amdhsa_exception_fp_ieee_div_zero 0
		.amdhsa_exception_fp_ieee_overflow 0
		.amdhsa_exception_fp_ieee_underflow 0
		.amdhsa_exception_fp_ieee_inexact 0
		.amdhsa_exception_int_div_zero 0
	.end_amdhsa_kernel
	.section	.text._ZL27rocblas_geam_inplace_deviceILi16ELi16EPK19rocblas_complex_numIfEPKS3_PKPS1_Ev18rocblas_operation_iiT1_SA_T2_lllT3_llli,"axG",@progbits,_ZL27rocblas_geam_inplace_deviceILi16ELi16EPK19rocblas_complex_numIfEPKS3_PKPS1_Ev18rocblas_operation_iiT1_SA_T2_lllT3_llli,comdat
.Lfunc_end56:
	.size	_ZL27rocblas_geam_inplace_deviceILi16ELi16EPK19rocblas_complex_numIfEPKS3_PKPS1_Ev18rocblas_operation_iiT1_SA_T2_lllT3_llli, .Lfunc_end56-_ZL27rocblas_geam_inplace_deviceILi16ELi16EPK19rocblas_complex_numIfEPKS3_PKPS1_Ev18rocblas_operation_iiT1_SA_T2_lllT3_llli
                                        ; -- End function
	.set _ZL27rocblas_geam_inplace_deviceILi16ELi16EPK19rocblas_complex_numIfEPKS3_PKPS1_Ev18rocblas_operation_iiT1_SA_T2_lllT3_llli.num_vgpr, 18
	.set _ZL27rocblas_geam_inplace_deviceILi16ELi16EPK19rocblas_complex_numIfEPKS3_PKPS1_Ev18rocblas_operation_iiT1_SA_T2_lllT3_llli.num_agpr, 0
	.set _ZL27rocblas_geam_inplace_deviceILi16ELi16EPK19rocblas_complex_numIfEPKS3_PKPS1_Ev18rocblas_operation_iiT1_SA_T2_lllT3_llli.numbered_sgpr, 24
	.set _ZL27rocblas_geam_inplace_deviceILi16ELi16EPK19rocblas_complex_numIfEPKS3_PKPS1_Ev18rocblas_operation_iiT1_SA_T2_lllT3_llli.num_named_barrier, 0
	.set _ZL27rocblas_geam_inplace_deviceILi16ELi16EPK19rocblas_complex_numIfEPKS3_PKPS1_Ev18rocblas_operation_iiT1_SA_T2_lllT3_llli.private_seg_size, 0
	.set _ZL27rocblas_geam_inplace_deviceILi16ELi16EPK19rocblas_complex_numIfEPKS3_PKPS1_Ev18rocblas_operation_iiT1_SA_T2_lllT3_llli.uses_vcc, 1
	.set _ZL27rocblas_geam_inplace_deviceILi16ELi16EPK19rocblas_complex_numIfEPKS3_PKPS1_Ev18rocblas_operation_iiT1_SA_T2_lllT3_llli.uses_flat_scratch, 0
	.set _ZL27rocblas_geam_inplace_deviceILi16ELi16EPK19rocblas_complex_numIfEPKS3_PKPS1_Ev18rocblas_operation_iiT1_SA_T2_lllT3_llli.has_dyn_sized_stack, 0
	.set _ZL27rocblas_geam_inplace_deviceILi16ELi16EPK19rocblas_complex_numIfEPKS3_PKPS1_Ev18rocblas_operation_iiT1_SA_T2_lllT3_llli.has_recursion, 0
	.set _ZL27rocblas_geam_inplace_deviceILi16ELi16EPK19rocblas_complex_numIfEPKS3_PKPS1_Ev18rocblas_operation_iiT1_SA_T2_lllT3_llli.has_indirect_call, 0
	.section	.AMDGPU.csdata,"",@progbits
; Kernel info:
; codeLenInByte = 1004
; TotalNumSgprs: 26
; NumVgprs: 18
; ScratchSize: 0
; MemoryBound: 0
; FloatMode: 240
; IeeeMode: 1
; LDSByteSize: 0 bytes/workgroup (compile time only)
; SGPRBlocks: 0
; VGPRBlocks: 1
; NumSGPRsForWavesPerEU: 26
; NumVGPRsForWavesPerEU: 18
; NamedBarCnt: 0
; Occupancy: 16
; WaveLimiterHint : 1
; COMPUTE_PGM_RSRC2:SCRATCH_EN: 0
; COMPUTE_PGM_RSRC2:USER_SGPR: 2
; COMPUTE_PGM_RSRC2:TRAP_HANDLER: 0
; COMPUTE_PGM_RSRC2:TGID_X_EN: 1
; COMPUTE_PGM_RSRC2:TGID_Y_EN: 0
; COMPUTE_PGM_RSRC2:TGID_Z_EN: 1
; COMPUTE_PGM_RSRC2:TIDIG_COMP_CNT: 1
	.section	.text._ZL30rocblas_geam_1D_2matrix_deviceILi256E19rocblas_complex_numIfEPKPKS1_PKPS1_EvmT0_T1_llT2_lli,"axG",@progbits,_ZL30rocblas_geam_1D_2matrix_deviceILi256E19rocblas_complex_numIfEPKPKS1_PKPS1_EvmT0_T1_llT2_lli,comdat
	.globl	_ZL30rocblas_geam_1D_2matrix_deviceILi256E19rocblas_complex_numIfEPKPKS1_PKPS1_EvmT0_T1_llT2_lli ; -- Begin function _ZL30rocblas_geam_1D_2matrix_deviceILi256E19rocblas_complex_numIfEPKPKS1_PKPS1_EvmT0_T1_llT2_lli
	.p2align	8
	.type	_ZL30rocblas_geam_1D_2matrix_deviceILi256E19rocblas_complex_numIfEPKPKS1_PKPS1_EvmT0_T1_llT2_lli,@function
_ZL30rocblas_geam_1D_2matrix_deviceILi256E19rocblas_complex_numIfEPKPKS1_PKPS1_EvmT0_T1_llT2_lli: ; @_ZL30rocblas_geam_1D_2matrix_deviceILi256E19rocblas_complex_numIfEPKPKS1_PKPS1_EvmT0_T1_llT2_lli
; %bb.0:
	s_load_b32 s16, s[0:1], 0x40
	s_bfe_u32 s2, ttmp6, 0x40014
	s_lshr_b32 s3, ttmp7, 16
	s_add_co_i32 s2, s2, 1
	s_bfe_u32 s4, ttmp6, 0x40008
	s_mul_i32 s2, s3, s2
	s_getreg_b32 s12, hwreg(HW_REG_IB_STS2, 6, 4)
	s_add_co_i32 s4, s4, s2
	s_cmp_eq_u32 s12, 0
	s_cselect_b32 s2, s3, s4
	s_mov_b32 s3, 0
	s_wait_kmcnt 0x0
	s_cmp_ge_u32 s2, s16
	s_cbranch_scc1 .LBB57_8
; %bb.1:
	s_clause 0x1
	s_load_b32 s13, s[0:1], 0x54
	s_load_b256 s[4:11], s[0:1], 0x0
	s_bfe_u32 s14, ttmp6, 0x4000c
	s_and_b32 s15, ttmp6, 15
	s_add_co_i32 s14, s14, 1
	v_mov_b32_e32 v1, 0
	s_mul_i32 s14, ttmp9, s14
	v_mov_b64_e32 v[6:7], 0
	s_add_co_i32 s17, s15, s14
	s_wait_kmcnt 0x0
	s_and_b32 s18, s13, 0xffff
	s_cmp_eq_u32 s12, 0
	s_load_b128 s[12:15], s[0:1], 0x28
	s_wait_xcnt 0x0
	s_cselect_b32 s0, ttmp9, s17
	s_delay_alu instid0(SALU_CYCLE_1) | instskip(SKIP_1) | instid1(SALU_CYCLE_1)
	v_mad_nc_u64_u32 v[2:3], s18, s0, v[0:1]
	s_or_b32 s0, s6, s7
	s_bitset0_b32 s0, 31
	s_delay_alu instid0(SALU_CYCLE_1) | instskip(SKIP_2) | instid1(VALU_DEP_1)
	s_cmp_lg_u32 s0, 0
	s_cselect_b32 s1, -1, 0
	s_lshl_b64 s[10:11], s[10:11], 3
	v_cmp_gt_u64_e64 s0, s[4:5], v[2:3]
	v_lshlrev_b64_e32 v[4:5], 3, v[2:3]
	s_mov_b32 s4, s6
	s_mov_b32 s5, s6
	;; [unrolled: 1-line block ×3, first 2 shown]
	s_wait_kmcnt 0x0
	s_lshl_b64 s[14:15], s[14:15], 3
	s_branch .LBB57_3
.LBB57_2:                               ;   in Loop: Header=BB57_3 Depth=1
	s_wait_xcnt 0x0
	s_or_b32 exec_lo, exec_lo, s17
	s_add_co_i32 s2, s2, 0x10000
	s_delay_alu instid0(SALU_CYCLE_1)
	s_cmp_lt_u32 s2, s16
	s_cbranch_scc0 .LBB57_8
.LBB57_3:                               ; =>This Inner Loop Header: Depth=1
	s_and_saveexec_b32 s17, s0
	s_cbranch_execz .LBB57_2
; %bb.4:                                ;   in Loop: Header=BB57_3 Depth=1
	v_mov_b32_e32 v0, s2
	s_and_b32 vcc_lo, exec_lo, s1
	s_mov_b32 s18, -1
	global_load_b64 v[8:9], v0, s[12:13] scale_offset
	s_wait_loadcnt 0x0
	v_add_nc_u64_e32 v[8:9], s[14:15], v[8:9]
	s_cbranch_vccz .LBB57_6
; %bb.5:                                ;   in Loop: Header=BB57_3 Depth=1
	s_lshl_b64 s[18:19], s[2:3], 3
	v_mov_b64_e32 v[12:13], s[6:7]
	s_add_nc_u64 s[18:19], s[8:9], s[18:19]
	v_mov_b64_e32 v[14:15], s[4:5]
	global_load_b64 v[10:11], v1, s[18:19]
	v_add_nc_u64_e32 v[18:19], v[8:9], v[4:5]
	s_wait_xcnt 0x0
	s_mov_b32 s18, 0
	s_wait_loadcnt 0x0
	v_add_nc_u64_e32 v[10:11], s[10:11], v[10:11]
	s_delay_alu instid0(VALU_DEP_1) | instskip(SKIP_3) | instid1(VALU_DEP_1)
	v_add_nc_u64_e32 v[10:11], v[10:11], v[4:5]
	flat_load_b64 v[10:11], v[10:11]
	s_wait_loadcnt_dscnt 0x0
	v_pk_mul_f32 v[12:13], v[10:11], v[12:13] op_sel:[1,0] op_sel_hi:[0,1]
	v_pk_fma_f32 v[16:17], v[10:11], v[14:15], v[12:13]
	s_wait_xcnt 0x0
	v_pk_fma_f32 v[10:11], v[10:11], v[14:15], v[12:13] neg_lo:[0,0,1] neg_hi:[0,0,1]
	s_delay_alu instid0(VALU_DEP_2)
	v_mov_b32_e32 v11, v17
	flat_store_b64 v[18:19], v[10:11]
.LBB57_6:                               ;   in Loop: Header=BB57_3 Depth=1
	s_and_not1_b32 vcc_lo, exec_lo, s18
	s_cbranch_vccnz .LBB57_2
; %bb.7:                                ;   in Loop: Header=BB57_3 Depth=1
	s_delay_alu instid0(VALU_DEP_1)
	v_lshl_add_u64 v[8:9], v[2:3], 3, v[8:9]
	flat_store_b64 v[8:9], v[6:7]
	s_branch .LBB57_2
.LBB57_8:
	s_endpgm
	.section	.rodata,"a",@progbits
	.p2align	6, 0x0
	.amdhsa_kernel _ZL30rocblas_geam_1D_2matrix_deviceILi256E19rocblas_complex_numIfEPKPKS1_PKPS1_EvmT0_T1_llT2_lli
		.amdhsa_group_segment_fixed_size 0
		.amdhsa_private_segment_fixed_size 0
		.amdhsa_kernarg_size 328
		.amdhsa_user_sgpr_count 2
		.amdhsa_user_sgpr_dispatch_ptr 0
		.amdhsa_user_sgpr_queue_ptr 0
		.amdhsa_user_sgpr_kernarg_segment_ptr 1
		.amdhsa_user_sgpr_dispatch_id 0
		.amdhsa_user_sgpr_kernarg_preload_length 0
		.amdhsa_user_sgpr_kernarg_preload_offset 0
		.amdhsa_user_sgpr_private_segment_size 0
		.amdhsa_wavefront_size32 1
		.amdhsa_uses_dynamic_stack 0
		.amdhsa_enable_private_segment 0
		.amdhsa_system_sgpr_workgroup_id_x 1
		.amdhsa_system_sgpr_workgroup_id_y 0
		.amdhsa_system_sgpr_workgroup_id_z 1
		.amdhsa_system_sgpr_workgroup_info 0
		.amdhsa_system_vgpr_workitem_id 0
		.amdhsa_next_free_vgpr 20
		.amdhsa_next_free_sgpr 20
		.amdhsa_named_barrier_count 0
		.amdhsa_reserve_vcc 1
		.amdhsa_float_round_mode_32 0
		.amdhsa_float_round_mode_16_64 0
		.amdhsa_float_denorm_mode_32 3
		.amdhsa_float_denorm_mode_16_64 3
		.amdhsa_fp16_overflow 0
		.amdhsa_memory_ordered 1
		.amdhsa_forward_progress 1
		.amdhsa_inst_pref_size 4
		.amdhsa_round_robin_scheduling 0
		.amdhsa_exception_fp_ieee_invalid_op 0
		.amdhsa_exception_fp_denorm_src 0
		.amdhsa_exception_fp_ieee_div_zero 0
		.amdhsa_exception_fp_ieee_overflow 0
		.amdhsa_exception_fp_ieee_underflow 0
		.amdhsa_exception_fp_ieee_inexact 0
		.amdhsa_exception_int_div_zero 0
	.end_amdhsa_kernel
	.section	.text._ZL30rocblas_geam_1D_2matrix_deviceILi256E19rocblas_complex_numIfEPKPKS1_PKPS1_EvmT0_T1_llT2_lli,"axG",@progbits,_ZL30rocblas_geam_1D_2matrix_deviceILi256E19rocblas_complex_numIfEPKPKS1_PKPS1_EvmT0_T1_llT2_lli,comdat
.Lfunc_end57:
	.size	_ZL30rocblas_geam_1D_2matrix_deviceILi256E19rocblas_complex_numIfEPKPKS1_PKPS1_EvmT0_T1_llT2_lli, .Lfunc_end57-_ZL30rocblas_geam_1D_2matrix_deviceILi256E19rocblas_complex_numIfEPKPKS1_PKPS1_EvmT0_T1_llT2_lli
                                        ; -- End function
	.set _ZL30rocblas_geam_1D_2matrix_deviceILi256E19rocblas_complex_numIfEPKPKS1_PKPS1_EvmT0_T1_llT2_lli.num_vgpr, 20
	.set _ZL30rocblas_geam_1D_2matrix_deviceILi256E19rocblas_complex_numIfEPKPKS1_PKPS1_EvmT0_T1_llT2_lli.num_agpr, 0
	.set _ZL30rocblas_geam_1D_2matrix_deviceILi256E19rocblas_complex_numIfEPKPKS1_PKPS1_EvmT0_T1_llT2_lli.numbered_sgpr, 20
	.set _ZL30rocblas_geam_1D_2matrix_deviceILi256E19rocblas_complex_numIfEPKPKS1_PKPS1_EvmT0_T1_llT2_lli.num_named_barrier, 0
	.set _ZL30rocblas_geam_1D_2matrix_deviceILi256E19rocblas_complex_numIfEPKPKS1_PKPS1_EvmT0_T1_llT2_lli.private_seg_size, 0
	.set _ZL30rocblas_geam_1D_2matrix_deviceILi256E19rocblas_complex_numIfEPKPKS1_PKPS1_EvmT0_T1_llT2_lli.uses_vcc, 1
	.set _ZL30rocblas_geam_1D_2matrix_deviceILi256E19rocblas_complex_numIfEPKPKS1_PKPS1_EvmT0_T1_llT2_lli.uses_flat_scratch, 0
	.set _ZL30rocblas_geam_1D_2matrix_deviceILi256E19rocblas_complex_numIfEPKPKS1_PKPS1_EvmT0_T1_llT2_lli.has_dyn_sized_stack, 0
	.set _ZL30rocblas_geam_1D_2matrix_deviceILi256E19rocblas_complex_numIfEPKPKS1_PKPS1_EvmT0_T1_llT2_lli.has_recursion, 0
	.set _ZL30rocblas_geam_1D_2matrix_deviceILi256E19rocblas_complex_numIfEPKPKS1_PKPS1_EvmT0_T1_llT2_lli.has_indirect_call, 0
	.section	.AMDGPU.csdata,"",@progbits
; Kernel info:
; codeLenInByte = 456
; TotalNumSgprs: 22
; NumVgprs: 20
; ScratchSize: 0
; MemoryBound: 0
; FloatMode: 240
; IeeeMode: 1
; LDSByteSize: 0 bytes/workgroup (compile time only)
; SGPRBlocks: 0
; VGPRBlocks: 1
; NumSGPRsForWavesPerEU: 22
; NumVGPRsForWavesPerEU: 20
; NamedBarCnt: 0
; Occupancy: 16
; WaveLimiterHint : 1
; COMPUTE_PGM_RSRC2:SCRATCH_EN: 0
; COMPUTE_PGM_RSRC2:USER_SGPR: 2
; COMPUTE_PGM_RSRC2:TRAP_HANDLER: 0
; COMPUTE_PGM_RSRC2:TGID_X_EN: 1
; COMPUTE_PGM_RSRC2:TGID_Y_EN: 0
; COMPUTE_PGM_RSRC2:TGID_Z_EN: 1
; COMPUTE_PGM_RSRC2:TIDIG_COMP_CNT: 0
	.section	.text._ZL27rocblas_geam_2matrix_deviceILi16ELi16E19rocblas_complex_numIfEPKPKS1_PKPS1_Ev18rocblas_operation_iiT1_T2_lllT3_llli,"axG",@progbits,_ZL27rocblas_geam_2matrix_deviceILi16ELi16E19rocblas_complex_numIfEPKPKS1_PKPS1_Ev18rocblas_operation_iiT1_T2_lllT3_llli,comdat
	.globl	_ZL27rocblas_geam_2matrix_deviceILi16ELi16E19rocblas_complex_numIfEPKPKS1_PKPS1_Ev18rocblas_operation_iiT1_T2_lllT3_llli ; -- Begin function _ZL27rocblas_geam_2matrix_deviceILi16ELi16E19rocblas_complex_numIfEPKPKS1_PKPS1_Ev18rocblas_operation_iiT1_T2_lllT3_llli
	.p2align	8
	.type	_ZL27rocblas_geam_2matrix_deviceILi16ELi16E19rocblas_complex_numIfEPKPKS1_PKPS1_Ev18rocblas_operation_iiT1_T2_lllT3_llli,@function
_ZL27rocblas_geam_2matrix_deviceILi16ELi16E19rocblas_complex_numIfEPKPKS1_PKPS1_Ev18rocblas_operation_iiT1_T2_lllT3_llli: ; @_ZL27rocblas_geam_2matrix_deviceILi16ELi16E19rocblas_complex_numIfEPKPKS1_PKPS1_Ev18rocblas_operation_iiT1_T2_lllT3_llli
; %bb.0:
	s_load_b32 s15, s[0:1], 0x58
	s_bfe_u32 s2, ttmp6, 0x40014
	s_lshr_b32 s3, ttmp7, 16
	s_add_co_i32 s2, s2, 1
	s_bfe_u32 s5, ttmp6, 0x40008
	s_mul_i32 s2, s3, s2
	s_getreg_b32 s4, hwreg(HW_REG_IB_STS2, 6, 4)
	s_add_co_i32 s5, s5, s2
	s_cmp_eq_u32 s4, 0
	s_cselect_b32 s2, s3, s5
	s_mov_b32 s3, 0
	s_wait_kmcnt 0x0
	s_cmp_ge_u32 s2, s15
	s_cbranch_scc1 .LBB58_8
; %bb.1:
	s_clause 0x1
	s_load_b96 s[12:14], s[0:1], 0x0
	s_load_b64 s[16:17], s[0:1], 0xc
	s_bfe_u32 s9, ttmp6, 0x4000c
	s_and_b32 s8, ttmp6, 15
	s_add_co_i32 s9, s9, 1
	s_clause 0x1
	s_load_b64 s[18:19], s[0:1], 0x28
	s_load_b64 s[20:21], s[0:1], 0x48
	s_mul_i32 s9, ttmp9, s9
	s_delay_alu instid0(SALU_CYCLE_1) | instskip(SKIP_2) | instid1(SALU_CYCLE_1)
	s_add_co_i32 s8, s8, s9
	s_wait_kmcnt 0x0
	s_add_co_i32 s5, s13, -1
	s_ashr_i32 s6, s5, 31
	s_delay_alu instid0(SALU_CYCLE_1) | instskip(NEXT) | instid1(SALU_CYCLE_1)
	s_lshr_b32 s6, s6, 28
	s_add_co_i32 s5, s5, s6
	s_delay_alu instid0(SALU_CYCLE_1) | instskip(NEXT) | instid1(SALU_CYCLE_1)
	s_ashr_i32 s5, s5, 4
	s_add_co_i32 s6, s5, 1
	s_not_b32 s5, s5
	s_cvt_f32_u32 s7, s6
	s_delay_alu instid0(SALU_CYCLE_3) | instskip(SKIP_1) | instid1(TRANS32_DEP_1)
	v_rcp_iflag_f32_e32 v1, s7
	v_nop
	v_readfirstlane_b32 s7, v1
	v_bfe_u32 v1, v0, 10, 10
	v_and_b32_e32 v0, 0x3ff, v0
	s_mul_f32 s7, s7, 0x4f7ffffe
	s_delay_alu instid0(SALU_CYCLE_3) | instskip(NEXT) | instid1(SALU_CYCLE_3)
	s_cvt_u32_f32 s7, s7
	s_mul_i32 s5, s5, s7
	s_delay_alu instid0(SALU_CYCLE_1) | instskip(NEXT) | instid1(SALU_CYCLE_1)
	s_mul_hi_u32 s5, s7, s5
	s_add_co_i32 s7, s7, s5
	s_cmp_eq_u32 s4, 0
	s_cselect_b32 s4, ttmp9, s8
	s_delay_alu instid0(SALU_CYCLE_1) | instskip(NEXT) | instid1(SALU_CYCLE_1)
	s_mul_hi_u32 s5, s4, s7
	s_mul_i32 s7, s5, s6
	s_add_co_i32 s8, s5, 1
	s_sub_co_i32 s7, s4, s7
	s_delay_alu instid0(SALU_CYCLE_1)
	s_sub_co_i32 s9, s7, s6
	s_cmp_ge_u32 s7, s6
	s_cselect_b32 s5, s8, s5
	s_cselect_b32 s7, s9, s7
	s_add_co_i32 s8, s5, 1
	s_cmp_ge_u32 s7, s6
	s_cselect_b32 s5, s8, s5
	s_delay_alu instid0(SALU_CYCLE_1) | instskip(SKIP_2) | instid1(SALU_CYCLE_1)
	s_mul_i32 s6, s5, s6
	v_lshl_add_u32 v4, s5, 4, v1
	s_sub_co_i32 s4, s4, s6
	v_lshl_add_u32 v2, s4, 4, v0
	s_clause 0x1
	s_load_b128 s[4:7], s[0:1], 0x18
	s_load_b128 s[8:11], s[0:1], 0x38
	v_ashrrev_i32_e32 v5, 31, v4
	v_cmp_gt_i32_e32 vcc_lo, s14, v4
	s_wait_xcnt 0x0
	s_or_b32 s1, s16, s17
	v_ashrrev_i32_e32 v3, 31, v2
	v_cmp_gt_i32_e64 s0, s13, v2
	v_mad_nc_u64_u32 v[6:7], s18, v2, v[4:5]
	s_bitset0_b32 s1, 31
	v_mad_nc_u64_u32 v[8:9], s18, v4, v[2:3]
	v_mad_nc_u64_u32 v[0:1], s20, v4, v[2:3]
	s_and_b32 s13, s0, vcc_lo
	s_cmp_lg_u32 s1, 0
	s_mov_b32 s0, s17
	s_cselect_b32 s14, -1, 0
	s_cmp_eq_u32 s12, 0x6f
	s_mov_b32 s1, s16
	s_delay_alu instid0(VALU_DEP_3)
	v_mad_u32 v7, s19, v2, v7
	s_cselect_b32 vcc_lo, -1, 0
	s_cmp_eq_u32 s12, 0x71
	v_mad_u32 v9, s19, v4, v9
	v_mad_u32 v1, s21, v4, v1
	s_cselect_b32 s12, -1, 0
	s_wait_kmcnt 0x0
	s_lshl_b64 s[10:11], s[10:11], 3
	s_lshl_b64 s[6:7], s[6:7], 3
	s_delay_alu instid0(VALU_DEP_3) | instskip(SKIP_1) | instid1(VALU_DEP_4)
	v_mad_u32 v4, s18, v3, v7
	v_mov_b64_e32 v[2:3], 0
	v_mad_u32 v7, s18, v5, v9
	s_delay_alu instid0(VALU_DEP_4) | instskip(NEXT) | instid1(VALU_DEP_2)
	v_mad_u32 v1, s20, v5, v1
	v_dual_cndmask_b32 v5, v4, v7 :: v_dual_cndmask_b32 v4, v6, v8
	v_mov_b32_e32 v8, 0
	s_branch .LBB58_3
.LBB58_2:                               ;   in Loop: Header=BB58_3 Depth=1
	s_wait_xcnt 0x0
	s_or_b32 exec_lo, exec_lo, s18
	s_add_co_i32 s2, s2, 0x10000
	s_delay_alu instid0(SALU_CYCLE_1)
	s_cmp_lt_u32 s2, s15
	s_cbranch_scc0 .LBB58_8
.LBB58_3:                               ; =>This Inner Loop Header: Depth=1
	s_and_saveexec_b32 s18, s13
	s_cbranch_execz .LBB58_2
; %bb.4:                                ;   in Loop: Header=BB58_3 Depth=1
	v_mov_b32_e32 v6, s2
	s_and_b32 vcc_lo, exec_lo, s14
	s_mov_b32 s19, -1
	global_load_b64 v[6:7], v6, s[8:9] scale_offset
	s_wait_loadcnt 0x0
	s_wait_xcnt 0x0
	v_add_nc_u64_e32 v[6:7], s[10:11], v[6:7]
	s_delay_alu instid0(VALU_DEP_1)
	v_lshl_add_u64 v[6:7], v[0:1], 3, v[6:7]
	s_cbranch_vccz .LBB58_6
; %bb.5:                                ;   in Loop: Header=BB58_3 Depth=1
	s_lshl_b64 s[20:21], s[2:3], 3
	v_mov_b64_e32 v[12:13], s[0:1]
	s_add_nc_u64 s[20:21], s[4:5], s[20:21]
	s_mov_b32 s19, 0
	global_load_b64 v[10:11], v8, s[20:21]
	s_wait_loadcnt 0x0
	v_add_nc_u64_e32 v[10:11], s[6:7], v[10:11]
	s_delay_alu instid0(VALU_DEP_1) | instskip(SKIP_3) | instid1(VALU_DEP_1)
	v_lshl_add_u64 v[10:11], v[4:5], 3, v[10:11]
	flat_load_b64 v[10:11], v[10:11]
	s_wait_loadcnt_dscnt 0x0
	v_cndmask_b32_e64 v14, v11, -v11, s12
	v_pk_mul_f32 v[12:13], v[14:15], v[12:13] op_sel_hi:[0,1]
	v_mov_b64_e32 v[14:15], s[16:17]
	s_delay_alu instid0(VALU_DEP_1) | instskip(SKIP_2) | instid1(VALU_DEP_2)
	v_pk_fma_f32 v[16:17], v[10:11], v[14:15], v[12:13] op_sel_hi:[0,1,1]
	s_wait_xcnt 0x0
	v_pk_fma_f32 v[10:11], v[10:11], v[14:15], v[12:13] neg_lo:[0,0,1] neg_hi:[0,0,1]
	v_mov_b32_e32 v11, v17
	flat_store_b64 v[6:7], v[10:11]
.LBB58_6:                               ;   in Loop: Header=BB58_3 Depth=1
	s_and_not1_b32 vcc_lo, exec_lo, s19
	s_cbranch_vccnz .LBB58_2
; %bb.7:                                ;   in Loop: Header=BB58_3 Depth=1
	flat_store_b64 v[6:7], v[2:3]
	s_branch .LBB58_2
.LBB58_8:
	s_endpgm
	.section	.rodata,"a",@progbits
	.p2align	6, 0x0
	.amdhsa_kernel _ZL27rocblas_geam_2matrix_deviceILi16ELi16E19rocblas_complex_numIfEPKPKS1_PKPS1_Ev18rocblas_operation_iiT1_T2_lllT3_llli
		.amdhsa_group_segment_fixed_size 0
		.amdhsa_private_segment_fixed_size 0
		.amdhsa_kernarg_size 92
		.amdhsa_user_sgpr_count 2
		.amdhsa_user_sgpr_dispatch_ptr 0
		.amdhsa_user_sgpr_queue_ptr 0
		.amdhsa_user_sgpr_kernarg_segment_ptr 1
		.amdhsa_user_sgpr_dispatch_id 0
		.amdhsa_user_sgpr_kernarg_preload_length 0
		.amdhsa_user_sgpr_kernarg_preload_offset 0
		.amdhsa_user_sgpr_private_segment_size 0
		.amdhsa_wavefront_size32 1
		.amdhsa_uses_dynamic_stack 0
		.amdhsa_enable_private_segment 0
		.amdhsa_system_sgpr_workgroup_id_x 1
		.amdhsa_system_sgpr_workgroup_id_y 0
		.amdhsa_system_sgpr_workgroup_id_z 1
		.amdhsa_system_sgpr_workgroup_info 0
		.amdhsa_system_vgpr_workitem_id 1
		.amdhsa_next_free_vgpr 18
		.amdhsa_next_free_sgpr 22
		.amdhsa_named_barrier_count 0
		.amdhsa_reserve_vcc 1
		.amdhsa_float_round_mode_32 0
		.amdhsa_float_round_mode_16_64 0
		.amdhsa_float_denorm_mode_32 3
		.amdhsa_float_denorm_mode_16_64 3
		.amdhsa_fp16_overflow 0
		.amdhsa_memory_ordered 1
		.amdhsa_forward_progress 1
		.amdhsa_inst_pref_size 7
		.amdhsa_round_robin_scheduling 0
		.amdhsa_exception_fp_ieee_invalid_op 0
		.amdhsa_exception_fp_denorm_src 0
		.amdhsa_exception_fp_ieee_div_zero 0
		.amdhsa_exception_fp_ieee_overflow 0
		.amdhsa_exception_fp_ieee_underflow 0
		.amdhsa_exception_fp_ieee_inexact 0
		.amdhsa_exception_int_div_zero 0
	.end_amdhsa_kernel
	.section	.text._ZL27rocblas_geam_2matrix_deviceILi16ELi16E19rocblas_complex_numIfEPKPKS1_PKPS1_Ev18rocblas_operation_iiT1_T2_lllT3_llli,"axG",@progbits,_ZL27rocblas_geam_2matrix_deviceILi16ELi16E19rocblas_complex_numIfEPKPKS1_PKPS1_Ev18rocblas_operation_iiT1_T2_lllT3_llli,comdat
.Lfunc_end58:
	.size	_ZL27rocblas_geam_2matrix_deviceILi16ELi16E19rocblas_complex_numIfEPKPKS1_PKPS1_Ev18rocblas_operation_iiT1_T2_lllT3_llli, .Lfunc_end58-_ZL27rocblas_geam_2matrix_deviceILi16ELi16E19rocblas_complex_numIfEPKPKS1_PKPS1_Ev18rocblas_operation_iiT1_T2_lllT3_llli
                                        ; -- End function
	.set _ZL27rocblas_geam_2matrix_deviceILi16ELi16E19rocblas_complex_numIfEPKPKS1_PKPS1_Ev18rocblas_operation_iiT1_T2_lllT3_llli.num_vgpr, 18
	.set _ZL27rocblas_geam_2matrix_deviceILi16ELi16E19rocblas_complex_numIfEPKPKS1_PKPS1_Ev18rocblas_operation_iiT1_T2_lllT3_llli.num_agpr, 0
	.set _ZL27rocblas_geam_2matrix_deviceILi16ELi16E19rocblas_complex_numIfEPKPKS1_PKPS1_Ev18rocblas_operation_iiT1_T2_lllT3_llli.numbered_sgpr, 22
	.set _ZL27rocblas_geam_2matrix_deviceILi16ELi16E19rocblas_complex_numIfEPKPKS1_PKPS1_Ev18rocblas_operation_iiT1_T2_lllT3_llli.num_named_barrier, 0
	.set _ZL27rocblas_geam_2matrix_deviceILi16ELi16E19rocblas_complex_numIfEPKPKS1_PKPS1_Ev18rocblas_operation_iiT1_T2_lllT3_llli.private_seg_size, 0
	.set _ZL27rocblas_geam_2matrix_deviceILi16ELi16E19rocblas_complex_numIfEPKPKS1_PKPS1_Ev18rocblas_operation_iiT1_T2_lllT3_llli.uses_vcc, 1
	.set _ZL27rocblas_geam_2matrix_deviceILi16ELi16E19rocblas_complex_numIfEPKPKS1_PKPS1_Ev18rocblas_operation_iiT1_T2_lllT3_llli.uses_flat_scratch, 0
	.set _ZL27rocblas_geam_2matrix_deviceILi16ELi16E19rocblas_complex_numIfEPKPKS1_PKPS1_Ev18rocblas_operation_iiT1_T2_lllT3_llli.has_dyn_sized_stack, 0
	.set _ZL27rocblas_geam_2matrix_deviceILi16ELi16E19rocblas_complex_numIfEPKPKS1_PKPS1_Ev18rocblas_operation_iiT1_T2_lllT3_llli.has_recursion, 0
	.set _ZL27rocblas_geam_2matrix_deviceILi16ELi16E19rocblas_complex_numIfEPKPKS1_PKPS1_Ev18rocblas_operation_iiT1_T2_lllT3_llli.has_indirect_call, 0
	.section	.AMDGPU.csdata,"",@progbits
; Kernel info:
; codeLenInByte = 784
; TotalNumSgprs: 24
; NumVgprs: 18
; ScratchSize: 0
; MemoryBound: 0
; FloatMode: 240
; IeeeMode: 1
; LDSByteSize: 0 bytes/workgroup (compile time only)
; SGPRBlocks: 0
; VGPRBlocks: 1
; NumSGPRsForWavesPerEU: 24
; NumVGPRsForWavesPerEU: 18
; NamedBarCnt: 0
; Occupancy: 16
; WaveLimiterHint : 1
; COMPUTE_PGM_RSRC2:SCRATCH_EN: 0
; COMPUTE_PGM_RSRC2:USER_SGPR: 2
; COMPUTE_PGM_RSRC2:TRAP_HANDLER: 0
; COMPUTE_PGM_RSRC2:TGID_X_EN: 1
; COMPUTE_PGM_RSRC2:TGID_Y_EN: 0
; COMPUTE_PGM_RSRC2:TGID_Z_EN: 1
; COMPUTE_PGM_RSRC2:TIDIG_COMP_CNT: 1
	.section	.text._ZL22rocblas_geam_1D_deviceILi256E19rocblas_complex_numIfEPKPKS1_PKPS1_EvmT0_T1_llS9_SA_llT2_lli,"axG",@progbits,_ZL22rocblas_geam_1D_deviceILi256E19rocblas_complex_numIfEPKPKS1_PKPS1_EvmT0_T1_llS9_SA_llT2_lli,comdat
	.globl	_ZL22rocblas_geam_1D_deviceILi256E19rocblas_complex_numIfEPKPKS1_PKPS1_EvmT0_T1_llS9_SA_llT2_lli ; -- Begin function _ZL22rocblas_geam_1D_deviceILi256E19rocblas_complex_numIfEPKPKS1_PKPS1_EvmT0_T1_llS9_SA_llT2_lli
	.p2align	8
	.type	_ZL22rocblas_geam_1D_deviceILi256E19rocblas_complex_numIfEPKPKS1_PKPS1_EvmT0_T1_llS9_SA_llT2_lli,@function
_ZL22rocblas_geam_1D_deviceILi256E19rocblas_complex_numIfEPKPKS1_PKPS1_EvmT0_T1_llS9_SA_llT2_lli: ; @_ZL22rocblas_geam_1D_deviceILi256E19rocblas_complex_numIfEPKPKS1_PKPS1_EvmT0_T1_llS9_SA_llT2_lli
; %bb.0:
	s_load_b32 s26, s[0:1], 0x60
	s_bfe_u32 s2, ttmp6, 0x40014
	s_lshr_b32 s3, ttmp7, 16
	s_add_co_i32 s2, s2, 1
	s_bfe_u32 s4, ttmp6, 0x40008
	s_mul_i32 s2, s3, s2
	s_getreg_b32 s12, hwreg(HW_REG_IB_STS2, 6, 4)
	s_add_co_i32 s4, s4, s2
	s_cmp_eq_u32 s12, 0
	s_cselect_b32 s2, s3, s4
	s_mov_b32 s3, 0
	s_wait_kmcnt 0x0
	s_cmp_ge_u32 s2, s26
	s_cbranch_scc1 .LBB59_16
; %bb.1:
	s_clause 0x1
	s_load_b32 s13, s[0:1], 0x74
	s_load_b256 s[4:11], s[0:1], 0x0
	s_bfe_u32 s14, ttmp6, 0x4000c
	s_load_b64 s[20:21], s[0:1], 0x28
	s_add_co_i32 s14, s14, 1
	s_and_b32 s15, ttmp6, 15
	s_mul_i32 s14, ttmp9, s14
	v_mov_b32_e32 v1, 0
	s_add_co_i32 s15, s15, s14
	v_mov_b64_e32 v[2:3], 0
	s_wait_kmcnt 0x0
	s_and_b32 s22, s13, 0xffff
	s_cmp_eq_u32 s12, 0
	s_mov_b32 s24, s6
	s_cselect_b32 s23, ttmp9, s15
	s_cmp_neq_f32 s7, 0
	s_load_b128 s[12:15], s[0:1], 0x30
	v_mad_nc_u64_u32 v[4:5], s22, s23, v[0:1]
	s_mov_b32 s22, s20
	s_cselect_b32 s16, -1, 0
	s_cmp_neq_f32 s6, 0
	s_mov_b32 s23, s20
	s_mov_b32 s25, s6
	s_cselect_b32 s17, -1, 0
	s_delay_alu instid0(SALU_CYCLE_1)
	s_or_b32 s28, s17, s16
	s_cmp_neq_f32 s21, 0
	s_load_b128 s[16:19], s[0:1], 0x48
	v_cndmask_b32_e64 v0, 0, 1, s28
	s_cselect_b32 s29, -1, 0
	s_cmp_neq_f32 s20, 0
	s_cselect_b32 s30, -1, 0
	s_wait_xcnt 0x0
	s_or_b32 s0, s6, s7
	s_mov_b32 s6, s7
	s_bitset0_b32 s0, 31
	s_delay_alu instid0(SALU_CYCLE_1)
	s_cmp_lg_u32 s0, 0
	v_cmp_gt_u64_e64 s0, s[4:5], v[4:5]
	s_cselect_b32 s1, -1, 0
	s_or_b32 s4, s20, s21
	s_mov_b32 s20, s21
	s_bitset0_b32 s4, 31
	s_delay_alu instid0(SALU_CYCLE_1)
	s_cmp_lg_u32 s4, 0
	s_cselect_b32 s27, -1, 0
	s_or_b32 s4, s30, s29
	s_lshl_b64 s[10:11], s[10:11], 3
	v_cndmask_b32_e64 v16, 0, 1, s4
	s_nor_b32 s28, s4, s28
	s_wait_kmcnt 0x0
	s_lshl_b64 s[4:5], s[18:19], 3
	s_lshl_b64 s[14:15], s[14:15], 3
	s_branch .LBB59_4
.LBB59_2:                               ;   in Loop: Header=BB59_4 Depth=1
	s_wait_xcnt 0x0
	s_delay_alu instid0(VALU_DEP_1)
	v_pk_add_f32 v[8:9], v[12:13], v[10:11]
	flat_store_b64 v[6:7], v[8:9]
.LBB59_3:                               ;   in Loop: Header=BB59_4 Depth=1
	s_wait_xcnt 0x0
	s_or_b32 exec_lo, exec_lo, s18
	s_add_co_i32 s2, s2, 0x10000
	s_delay_alu instid0(SALU_CYCLE_1)
	s_cmp_lt_u32 s2, s26
	s_cbranch_scc0 .LBB59_16
.LBB59_4:                               ; =>This Inner Loop Header: Depth=1
	s_and_saveexec_b32 s18, s0
	s_cbranch_execz .LBB59_3
; %bb.5:                                ;   in Loop: Header=BB59_4 Depth=1
	v_mov_b32_e32 v6, s2
	s_and_not1_b32 vcc_lo, exec_lo, s28
	s_mov_b32 s19, -1
	global_load_b64 v[6:7], v6, s[16:17] scale_offset
	s_wait_loadcnt 0x0
	s_wait_xcnt 0x0
	v_add_nc_u64_e32 v[6:7], s[4:5], v[6:7]
	s_delay_alu instid0(VALU_DEP_1)
	v_lshl_add_u64 v[6:7], v[4:5], 3, v[6:7]
	s_cbranch_vccnz .LBB59_7
; %bb.6:                                ;   in Loop: Header=BB59_4 Depth=1
	s_mov_b32 s19, 0
	flat_store_b64 v[6:7], v[2:3]
.LBB59_7:                               ;   in Loop: Header=BB59_4 Depth=1
	s_and_not1_b32 vcc_lo, exec_lo, s19
	s_cbranch_vccnz .LBB59_3
; %bb.8:                                ;   in Loop: Header=BB59_4 Depth=1
	v_mov_b64_e32 v[14:15], 0
	v_mov_b64_e32 v[8:9], 0
	s_and_not1_b32 vcc_lo, exec_lo, s1
	s_cbranch_vccnz .LBB59_10
; %bb.9:                                ;   in Loop: Header=BB59_4 Depth=1
	s_lshl_b64 s[30:31], s[2:3], 3
	s_delay_alu instid0(SALU_CYCLE_1)
	s_add_nc_u64 s[30:31], s[8:9], s[30:31]
	global_load_b64 v[8:9], v1, s[30:31]
	s_wait_loadcnt 0x0
	v_add_nc_u64_e32 v[8:9], s[10:11], v[8:9]
.LBB59_10:                              ;   in Loop: Header=BB59_4 Depth=1
	s_and_not1_b32 vcc_lo, exec_lo, s27
	s_cbranch_vccnz .LBB59_12
; %bb.11:                               ;   in Loop: Header=BB59_4 Depth=1
	s_wait_xcnt 0x0
	s_lshl_b64 s[30:31], s[2:3], 3
	s_delay_alu instid0(SALU_CYCLE_1)
	s_add_nc_u64 s[30:31], s[12:13], s[30:31]
	global_load_b64 v[10:11], v1, s[30:31]
	s_wait_loadcnt 0x0
	v_add_nc_u64_e32 v[14:15], s[14:15], v[10:11]
.LBB59_12:                              ;   in Loop: Header=BB59_4 Depth=1
	v_cmp_ne_u32_e32 vcc_lo, 1, v16
	v_dual_mov_b32 v10, 0 :: v_dual_mov_b32 v12, 0
	v_mov_b32_e32 v13, 0
	s_cbranch_vccnz .LBB59_14
; %bb.13:                               ;   in Loop: Header=BB59_4 Depth=1
	s_delay_alu instid0(VALU_DEP_4)
	v_lshl_add_u64 v[12:13], v[4:5], 3, v[14:15]
	v_mov_b64_e32 v[14:15], s[20:21]
	v_mov_b64_e32 v[18:19], s[22:23]
	flat_load_b64 v[12:13], v[12:13]
	s_wait_loadcnt_dscnt 0x0
	v_pk_mul_f32 v[14:15], v[12:13], v[14:15] op_sel:[1,0] op_sel_hi:[0,1]
	v_pk_mul_f32 v[20:21], v[12:13], v[18:19]
	s_wait_xcnt 0x0
	s_delay_alu instid0(VALU_DEP_2) | instskip(NEXT) | instid1(VALU_DEP_2)
	v_pk_fma_f32 v[12:13], v[12:13], v[18:19], v[14:15]
	v_sub_f32_e32 v12, v20, v14
.LBB59_14:                              ;   in Loop: Header=BB59_4 Depth=1
	v_cmp_ne_u32_e32 vcc_lo, 1, v0
	v_mov_b32_e32 v11, 0
	s_cbranch_vccnz .LBB59_2
; %bb.15:                               ;   in Loop: Header=BB59_4 Depth=1
	v_lshl_add_u64 v[8:9], v[4:5], 3, v[8:9]
	v_mov_b64_e32 v[10:11], s[6:7]
	v_mov_b64_e32 v[14:15], s[24:25]
	flat_load_b64 v[8:9], v[8:9]
	s_wait_loadcnt_dscnt 0x0
	v_pk_mul_f32 v[18:19], v[8:9], v[10:11] op_sel:[1,0] op_sel_hi:[0,1]
	v_pk_mul_f32 v[20:21], v[8:9], v[14:15]
	s_delay_alu instid0(VALU_DEP_2) | instskip(NEXT) | instid1(VALU_DEP_2)
	v_pk_fma_f32 v[10:11], v[8:9], v[14:15], v[18:19]
	v_sub_f32_e32 v10, v20, v18
	s_branch .LBB59_2
.LBB59_16:
	s_endpgm
	.section	.rodata,"a",@progbits
	.p2align	6, 0x0
	.amdhsa_kernel _ZL22rocblas_geam_1D_deviceILi256E19rocblas_complex_numIfEPKPKS1_PKPS1_EvmT0_T1_llS9_SA_llT2_lli
		.amdhsa_group_segment_fixed_size 0
		.amdhsa_private_segment_fixed_size 0
		.amdhsa_kernarg_size 360
		.amdhsa_user_sgpr_count 2
		.amdhsa_user_sgpr_dispatch_ptr 0
		.amdhsa_user_sgpr_queue_ptr 0
		.amdhsa_user_sgpr_kernarg_segment_ptr 1
		.amdhsa_user_sgpr_dispatch_id 0
		.amdhsa_user_sgpr_kernarg_preload_length 0
		.amdhsa_user_sgpr_kernarg_preload_offset 0
		.amdhsa_user_sgpr_private_segment_size 0
		.amdhsa_wavefront_size32 1
		.amdhsa_uses_dynamic_stack 0
		.amdhsa_enable_private_segment 0
		.amdhsa_system_sgpr_workgroup_id_x 1
		.amdhsa_system_sgpr_workgroup_id_y 0
		.amdhsa_system_sgpr_workgroup_id_z 1
		.amdhsa_system_sgpr_workgroup_info 0
		.amdhsa_system_vgpr_workitem_id 0
		.amdhsa_next_free_vgpr 22
		.amdhsa_next_free_sgpr 32
		.amdhsa_named_barrier_count 0
		.amdhsa_reserve_vcc 1
		.amdhsa_float_round_mode_32 0
		.amdhsa_float_round_mode_16_64 0
		.amdhsa_float_denorm_mode_32 3
		.amdhsa_float_denorm_mode_16_64 3
		.amdhsa_fp16_overflow 0
		.amdhsa_memory_ordered 1
		.amdhsa_forward_progress 1
		.amdhsa_inst_pref_size 6
		.amdhsa_round_robin_scheduling 0
		.amdhsa_exception_fp_ieee_invalid_op 0
		.amdhsa_exception_fp_denorm_src 0
		.amdhsa_exception_fp_ieee_div_zero 0
		.amdhsa_exception_fp_ieee_overflow 0
		.amdhsa_exception_fp_ieee_underflow 0
		.amdhsa_exception_fp_ieee_inexact 0
		.amdhsa_exception_int_div_zero 0
	.end_amdhsa_kernel
	.section	.text._ZL22rocblas_geam_1D_deviceILi256E19rocblas_complex_numIfEPKPKS1_PKPS1_EvmT0_T1_llS9_SA_llT2_lli,"axG",@progbits,_ZL22rocblas_geam_1D_deviceILi256E19rocblas_complex_numIfEPKPKS1_PKPS1_EvmT0_T1_llS9_SA_llT2_lli,comdat
.Lfunc_end59:
	.size	_ZL22rocblas_geam_1D_deviceILi256E19rocblas_complex_numIfEPKPKS1_PKPS1_EvmT0_T1_llS9_SA_llT2_lli, .Lfunc_end59-_ZL22rocblas_geam_1D_deviceILi256E19rocblas_complex_numIfEPKPKS1_PKPS1_EvmT0_T1_llS9_SA_llT2_lli
                                        ; -- End function
	.set _ZL22rocblas_geam_1D_deviceILi256E19rocblas_complex_numIfEPKPKS1_PKPS1_EvmT0_T1_llS9_SA_llT2_lli.num_vgpr, 22
	.set _ZL22rocblas_geam_1D_deviceILi256E19rocblas_complex_numIfEPKPKS1_PKPS1_EvmT0_T1_llS9_SA_llT2_lli.num_agpr, 0
	.set _ZL22rocblas_geam_1D_deviceILi256E19rocblas_complex_numIfEPKPKS1_PKPS1_EvmT0_T1_llS9_SA_llT2_lli.numbered_sgpr, 32
	.set _ZL22rocblas_geam_1D_deviceILi256E19rocblas_complex_numIfEPKPKS1_PKPS1_EvmT0_T1_llS9_SA_llT2_lli.num_named_barrier, 0
	.set _ZL22rocblas_geam_1D_deviceILi256E19rocblas_complex_numIfEPKPKS1_PKPS1_EvmT0_T1_llS9_SA_llT2_lli.private_seg_size, 0
	.set _ZL22rocblas_geam_1D_deviceILi256E19rocblas_complex_numIfEPKPKS1_PKPS1_EvmT0_T1_llS9_SA_llT2_lli.uses_vcc, 1
	.set _ZL22rocblas_geam_1D_deviceILi256E19rocblas_complex_numIfEPKPKS1_PKPS1_EvmT0_T1_llS9_SA_llT2_lli.uses_flat_scratch, 0
	.set _ZL22rocblas_geam_1D_deviceILi256E19rocblas_complex_numIfEPKPKS1_PKPS1_EvmT0_T1_llS9_SA_llT2_lli.has_dyn_sized_stack, 0
	.set _ZL22rocblas_geam_1D_deviceILi256E19rocblas_complex_numIfEPKPKS1_PKPS1_EvmT0_T1_llS9_SA_llT2_lli.has_recursion, 0
	.set _ZL22rocblas_geam_1D_deviceILi256E19rocblas_complex_numIfEPKPKS1_PKPS1_EvmT0_T1_llS9_SA_llT2_lli.has_indirect_call, 0
	.section	.AMDGPU.csdata,"",@progbits
; Kernel info:
; codeLenInByte = 744
; TotalNumSgprs: 34
; NumVgprs: 22
; ScratchSize: 0
; MemoryBound: 0
; FloatMode: 240
; IeeeMode: 1
; LDSByteSize: 0 bytes/workgroup (compile time only)
; SGPRBlocks: 0
; VGPRBlocks: 1
; NumSGPRsForWavesPerEU: 34
; NumVGPRsForWavesPerEU: 22
; NamedBarCnt: 0
; Occupancy: 16
; WaveLimiterHint : 1
; COMPUTE_PGM_RSRC2:SCRATCH_EN: 0
; COMPUTE_PGM_RSRC2:USER_SGPR: 2
; COMPUTE_PGM_RSRC2:TRAP_HANDLER: 0
; COMPUTE_PGM_RSRC2:TGID_X_EN: 1
; COMPUTE_PGM_RSRC2:TGID_Y_EN: 0
; COMPUTE_PGM_RSRC2:TGID_Z_EN: 1
; COMPUTE_PGM_RSRC2:TIDIG_COMP_CNT: 0
	.section	.text._ZL22rocblas_geam_1D_deviceILi256EPK19rocblas_complex_numIfEPKS3_PKPS1_EvmT0_T1_llS9_SA_llT2_lli,"axG",@progbits,_ZL22rocblas_geam_1D_deviceILi256EPK19rocblas_complex_numIfEPKS3_PKPS1_EvmT0_T1_llS9_SA_llT2_lli,comdat
	.globl	_ZL22rocblas_geam_1D_deviceILi256EPK19rocblas_complex_numIfEPKS3_PKPS1_EvmT0_T1_llS9_SA_llT2_lli ; -- Begin function _ZL22rocblas_geam_1D_deviceILi256EPK19rocblas_complex_numIfEPKS3_PKPS1_EvmT0_T1_llS9_SA_llT2_lli
	.p2align	8
	.type	_ZL22rocblas_geam_1D_deviceILi256EPK19rocblas_complex_numIfEPKS3_PKPS1_EvmT0_T1_llS9_SA_llT2_lli,@function
_ZL22rocblas_geam_1D_deviceILi256EPK19rocblas_complex_numIfEPKS3_PKPS1_EvmT0_T1_llS9_SA_llT2_lli: ; @_ZL22rocblas_geam_1D_deviceILi256EPK19rocblas_complex_numIfEPKS3_PKPS1_EvmT0_T1_llS9_SA_llT2_lli
; %bb.0:
	s_load_b32 s24, s[0:1], 0x60
	s_bfe_u32 s2, ttmp6, 0x40014
	s_lshr_b32 s3, ttmp7, 16
	s_add_co_i32 s2, s2, 1
	s_bfe_u32 s4, ttmp6, 0x40008
	s_mul_i32 s2, s3, s2
	s_getreg_b32 s16, hwreg(HW_REG_IB_STS2, 6, 4)
	s_add_co_i32 s4, s4, s2
	s_cmp_eq_u32 s16, 0
	s_cselect_b32 s2, s3, s4
	s_mov_b32 s3, 0
	s_wait_kmcnt 0x0
	s_cmp_ge_u32 s2, s24
	s_cbranch_scc1 .LBB60_16
; %bb.1:
	s_clause 0x1
	s_load_b32 s17, s[0:1], 0x74
	s_load_b128 s[12:15], s[0:1], 0x48
	s_bfe_u32 s18, ttmp6, 0x4000c
	s_load_b256 s[4:11], s[0:1], 0x0
	s_add_co_i32 s18, s18, 1
	s_and_b32 s19, ttmp6, 15
	s_mul_i32 s18, ttmp9, s18
	v_mov_b32_e32 v1, 0
	s_add_co_i32 s19, s19, s18
	s_load_b64 s[20:21], s[0:1], 0x38
	v_mov_b64_e32 v[4:5], 0
	s_wait_kmcnt 0x0
	s_and_b32 s22, s17, 0xffff
	s_cmp_eq_u32 s16, 0
	s_cselect_b32 s23, ttmp9, s19
	s_load_b128 s[16:19], s[0:1], 0x28
	v_mad_nc_u64_u32 v[2:3], s22, s23, v[0:1]
	s_lshl_b64 s[10:11], s[10:11], 3
	s_wait_xcnt 0x0
	s_delay_alu instid0(VALU_DEP_1)
	v_cmp_gt_u64_e64 s0, s[4:5], v[2:3]
	s_lshl_b64 s[4:5], s[14:15], 3
	s_lshl_b64 s[14:15], s[20:21], 3
	s_branch .LBB60_3
.LBB60_2:                               ;   in Loop: Header=BB60_3 Depth=1
	s_wait_xcnt 0x0
	s_or_b32 exec_lo, exec_lo, s1
	s_add_co_i32 s2, s2, 0x10000
	s_delay_alu instid0(SALU_CYCLE_1)
	s_cmp_lt_u32 s2, s24
	s_cbranch_scc0 .LBB60_16
.LBB60_3:                               ; =>This Inner Loop Header: Depth=1
	s_and_saveexec_b32 s1, s0
	s_cbranch_execz .LBB60_2
; %bb.4:                                ;   in Loop: Header=BB60_3 Depth=1
	global_load_b64 v[6:7], v1, s[6:7]
	s_wait_kmcnt 0x0
	global_load_b64 v[8:9], v1, s[16:17]
	v_mov_b32_e32 v0, s2
	global_load_b64 v[10:11], v0, s[12:13] scale_offset
	s_wait_loadcnt 0x2
	v_readfirstlane_b32 s20, v6
	v_readfirstlane_b32 s21, v7
	s_wait_loadcnt 0x1
	v_readfirstlane_b32 s22, v8
	v_readfirstlane_b32 s23, v9
	s_cmp_eq_f32 s20, 0
	s_wait_loadcnt 0x0
	v_add_nc_u64_e32 v[6:7], s[4:5], v[10:11]
	s_cselect_b32 s25, -1, 0
	s_cmp_eq_f32 s21, 0
	s_cselect_b32 s26, -1, 0
	s_delay_alu instid0(SALU_CYCLE_1) | instskip(SKIP_4) | instid1(SALU_CYCLE_1)
	s_and_b32 s25, s25, s26
	s_cmp_eq_f32 s22, 0
	s_cselect_b32 s26, -1, 0
	s_cmp_eq_f32 s23, 0
	s_cselect_b32 s27, -1, 0
	s_and_b32 s26, s26, s27
	s_delay_alu instid0(SALU_CYCLE_1) | instskip(NEXT) | instid1(SALU_CYCLE_1)
	s_and_b32 s25, s25, s26
	s_and_not1_b32 vcc_lo, exec_lo, s25
	s_mov_b32 s25, -1
	s_cbranch_vccz .LBB60_14
; %bb.5:                                ;   in Loop: Header=BB60_3 Depth=1
	v_mov_b64_e32 v[14:15], 0
	v_mov_b64_e32 v[8:9], 0
	s_or_b32 s25, s20, s21
	s_delay_alu instid0(SALU_CYCLE_1) | instskip(NEXT) | instid1(SALU_CYCLE_1)
	s_bitset0_b32 s25, 31
	s_cmp_eq_u32 s25, 0
	s_cbranch_scc1 .LBB60_7
; %bb.6:                                ;   in Loop: Header=BB60_3 Depth=1
	s_lshl_b64 s[26:27], s[2:3], 3
	s_delay_alu instid0(SALU_CYCLE_1)
	s_add_nc_u64 s[26:27], s[8:9], s[26:27]
	global_load_b64 v[8:9], v1, s[26:27]
	s_wait_loadcnt 0x0
	v_add_nc_u64_e32 v[8:9], s[10:11], v[8:9]
.LBB60_7:                               ;   in Loop: Header=BB60_3 Depth=1
	s_or_b32 s25, s22, s23
	s_delay_alu instid0(SALU_CYCLE_1) | instskip(NEXT) | instid1(SALU_CYCLE_1)
	s_bitset0_b32 s25, 31
	s_cmp_eq_u32 s25, 0
	s_cbranch_scc1 .LBB60_9
; %bb.8:                                ;   in Loop: Header=BB60_3 Depth=1
	s_wait_xcnt 0x0
	s_lshl_b64 s[26:27], s[2:3], 3
	s_delay_alu instid0(SALU_CYCLE_1)
	s_add_nc_u64 s[26:27], s[18:19], s[26:27]
	global_load_b64 v[10:11], v1, s[26:27]
	s_wait_loadcnt 0x0
	v_add_nc_u64_e32 v[14:15], s[14:15], v[10:11]
.LBB60_9:                               ;   in Loop: Header=BB60_3 Depth=1
	s_cmp_neq_f32 s23, 0
	v_dual_mov_b32 v10, 0 :: v_dual_mov_b32 v12, 0
	v_mov_b32_e32 v13, 0
	s_cselect_b32 s25, -1, 0
	s_cmp_neq_f32 s22, 0
	s_wait_xcnt 0x0
	s_cselect_b32 s26, -1, 0
	s_delay_alu instid0(SALU_CYCLE_1) | instskip(NEXT) | instid1(SALU_CYCLE_1)
	s_or_b32 s25, s26, s25
	s_and_not1_b32 vcc_lo, exec_lo, s25
	s_cbranch_vccnz .LBB60_11
; %bb.10:                               ;   in Loop: Header=BB60_3 Depth=1
	v_lshl_add_u64 v[12:13], v[2:3], 3, v[14:15]
	v_mov_b64_e32 v[14:15], s[22:23]
	flat_load_b64 v[12:13], v[12:13]
	s_wait_loadcnt_dscnt 0x0
	v_pk_mul_f32 v[14:15], v[12:13], v[14:15] op_sel:[1,1] op_sel_hi:[0,1]
	v_pk_mul_f32 v[16:17], v[12:13], s[22:23] op_sel_hi:[1,0]
	s_wait_xcnt 0x0
	s_delay_alu instid0(VALU_DEP_2) | instskip(NEXT) | instid1(VALU_DEP_2)
	v_pk_fma_f32 v[12:13], v[12:13], s[22:23], v[14:15] op_sel_hi:[1,0,1]
	v_sub_f32_e32 v12, v16, v14
.LBB60_11:                              ;   in Loop: Header=BB60_3 Depth=1
	s_cmp_neq_f32 s21, 0
	v_mov_b32_e32 v11, 0
	s_cselect_b32 s22, -1, 0
	s_cmp_neq_f32 s20, 0
	s_cselect_b32 s23, -1, 0
	s_delay_alu instid0(SALU_CYCLE_1) | instskip(NEXT) | instid1(SALU_CYCLE_1)
	s_or_b32 s22, s23, s22
	s_and_not1_b32 vcc_lo, exec_lo, s22
	s_cbranch_vccnz .LBB60_13
; %bb.12:                               ;   in Loop: Header=BB60_3 Depth=1
	v_lshl_add_u64 v[8:9], v[2:3], 3, v[8:9]
	v_mov_b64_e32 v[10:11], s[20:21]
	flat_load_b64 v[8:9], v[8:9]
	s_wait_loadcnt_dscnt 0x0
	v_pk_mul_f32 v[14:15], v[8:9], v[10:11] op_sel:[1,1] op_sel_hi:[0,1]
	v_pk_mul_f32 v[16:17], v[8:9], s[20:21] op_sel_hi:[1,0]
	s_delay_alu instid0(VALU_DEP_2) | instskip(NEXT) | instid1(VALU_DEP_2)
	v_pk_fma_f32 v[10:11], v[8:9], s[20:21], v[14:15] op_sel_hi:[1,0,1]
	v_sub_f32_e32 v10, v16, v14
.LBB60_13:                              ;   in Loop: Header=BB60_3 Depth=1
	s_wait_xcnt 0x0
	s_delay_alu instid0(VALU_DEP_1)
	v_pk_add_f32 v[8:9], v[12:13], v[10:11]
	v_lshl_add_u64 v[10:11], v[2:3], 3, v[6:7]
	s_mov_b32 s25, 0
	flat_store_b64 v[10:11], v[8:9]
.LBB60_14:                              ;   in Loop: Header=BB60_3 Depth=1
	s_and_b32 vcc_lo, exec_lo, s25
	s_cbranch_vccz .LBB60_2
; %bb.15:                               ;   in Loop: Header=BB60_3 Depth=1
	v_lshl_add_u64 v[6:7], v[2:3], 3, v[6:7]
	flat_store_b64 v[6:7], v[4:5]
	s_branch .LBB60_2
.LBB60_16:
	s_endpgm
	.section	.rodata,"a",@progbits
	.p2align	6, 0x0
	.amdhsa_kernel _ZL22rocblas_geam_1D_deviceILi256EPK19rocblas_complex_numIfEPKS3_PKPS1_EvmT0_T1_llS9_SA_llT2_lli
		.amdhsa_group_segment_fixed_size 0
		.amdhsa_private_segment_fixed_size 0
		.amdhsa_kernarg_size 360
		.amdhsa_user_sgpr_count 2
		.amdhsa_user_sgpr_dispatch_ptr 0
		.amdhsa_user_sgpr_queue_ptr 0
		.amdhsa_user_sgpr_kernarg_segment_ptr 1
		.amdhsa_user_sgpr_dispatch_id 0
		.amdhsa_user_sgpr_kernarg_preload_length 0
		.amdhsa_user_sgpr_kernarg_preload_offset 0
		.amdhsa_user_sgpr_private_segment_size 0
		.amdhsa_wavefront_size32 1
		.amdhsa_uses_dynamic_stack 0
		.amdhsa_enable_private_segment 0
		.amdhsa_system_sgpr_workgroup_id_x 1
		.amdhsa_system_sgpr_workgroup_id_y 0
		.amdhsa_system_sgpr_workgroup_id_z 1
		.amdhsa_system_sgpr_workgroup_info 0
		.amdhsa_system_vgpr_workitem_id 0
		.amdhsa_next_free_vgpr 18
		.amdhsa_next_free_sgpr 28
		.amdhsa_named_barrier_count 0
		.amdhsa_reserve_vcc 1
		.amdhsa_float_round_mode_32 0
		.amdhsa_float_round_mode_16_64 0
		.amdhsa_float_denorm_mode_32 3
		.amdhsa_float_denorm_mode_16_64 3
		.amdhsa_fp16_overflow 0
		.amdhsa_memory_ordered 1
		.amdhsa_forward_progress 1
		.amdhsa_inst_pref_size 7
		.amdhsa_round_robin_scheduling 0
		.amdhsa_exception_fp_ieee_invalid_op 0
		.amdhsa_exception_fp_denorm_src 0
		.amdhsa_exception_fp_ieee_div_zero 0
		.amdhsa_exception_fp_ieee_overflow 0
		.amdhsa_exception_fp_ieee_underflow 0
		.amdhsa_exception_fp_ieee_inexact 0
		.amdhsa_exception_int_div_zero 0
	.end_amdhsa_kernel
	.section	.text._ZL22rocblas_geam_1D_deviceILi256EPK19rocblas_complex_numIfEPKS3_PKPS1_EvmT0_T1_llS9_SA_llT2_lli,"axG",@progbits,_ZL22rocblas_geam_1D_deviceILi256EPK19rocblas_complex_numIfEPKS3_PKPS1_EvmT0_T1_llS9_SA_llT2_lli,comdat
.Lfunc_end60:
	.size	_ZL22rocblas_geam_1D_deviceILi256EPK19rocblas_complex_numIfEPKS3_PKPS1_EvmT0_T1_llS9_SA_llT2_lli, .Lfunc_end60-_ZL22rocblas_geam_1D_deviceILi256EPK19rocblas_complex_numIfEPKS3_PKPS1_EvmT0_T1_llS9_SA_llT2_lli
                                        ; -- End function
	.set _ZL22rocblas_geam_1D_deviceILi256EPK19rocblas_complex_numIfEPKS3_PKPS1_EvmT0_T1_llS9_SA_llT2_lli.num_vgpr, 18
	.set _ZL22rocblas_geam_1D_deviceILi256EPK19rocblas_complex_numIfEPKS3_PKPS1_EvmT0_T1_llS9_SA_llT2_lli.num_agpr, 0
	.set _ZL22rocblas_geam_1D_deviceILi256EPK19rocblas_complex_numIfEPKS3_PKPS1_EvmT0_T1_llS9_SA_llT2_lli.numbered_sgpr, 28
	.set _ZL22rocblas_geam_1D_deviceILi256EPK19rocblas_complex_numIfEPKS3_PKPS1_EvmT0_T1_llS9_SA_llT2_lli.num_named_barrier, 0
	.set _ZL22rocblas_geam_1D_deviceILi256EPK19rocblas_complex_numIfEPKS3_PKPS1_EvmT0_T1_llS9_SA_llT2_lli.private_seg_size, 0
	.set _ZL22rocblas_geam_1D_deviceILi256EPK19rocblas_complex_numIfEPKS3_PKPS1_EvmT0_T1_llS9_SA_llT2_lli.uses_vcc, 1
	.set _ZL22rocblas_geam_1D_deviceILi256EPK19rocblas_complex_numIfEPKS3_PKPS1_EvmT0_T1_llS9_SA_llT2_lli.uses_flat_scratch, 0
	.set _ZL22rocblas_geam_1D_deviceILi256EPK19rocblas_complex_numIfEPKS3_PKPS1_EvmT0_T1_llS9_SA_llT2_lli.has_dyn_sized_stack, 0
	.set _ZL22rocblas_geam_1D_deviceILi256EPK19rocblas_complex_numIfEPKS3_PKPS1_EvmT0_T1_llS9_SA_llT2_lli.has_recursion, 0
	.set _ZL22rocblas_geam_1D_deviceILi256EPK19rocblas_complex_numIfEPKS3_PKPS1_EvmT0_T1_llS9_SA_llT2_lli.has_indirect_call, 0
	.section	.AMDGPU.csdata,"",@progbits
; Kernel info:
; codeLenInByte = 784
; TotalNumSgprs: 30
; NumVgprs: 18
; ScratchSize: 0
; MemoryBound: 0
; FloatMode: 240
; IeeeMode: 1
; LDSByteSize: 0 bytes/workgroup (compile time only)
; SGPRBlocks: 0
; VGPRBlocks: 1
; NumSGPRsForWavesPerEU: 30
; NumVGPRsForWavesPerEU: 18
; NamedBarCnt: 0
; Occupancy: 16
; WaveLimiterHint : 1
; COMPUTE_PGM_RSRC2:SCRATCH_EN: 0
; COMPUTE_PGM_RSRC2:USER_SGPR: 2
; COMPUTE_PGM_RSRC2:TRAP_HANDLER: 0
; COMPUTE_PGM_RSRC2:TGID_X_EN: 1
; COMPUTE_PGM_RSRC2:TGID_Y_EN: 0
; COMPUTE_PGM_RSRC2:TGID_Z_EN: 1
; COMPUTE_PGM_RSRC2:TIDIG_COMP_CNT: 0
	.section	.text._ZL19rocblas_geam_deviceILi16ELi16E19rocblas_complex_numIfEPKPKS1_PKPS1_Ev18rocblas_operation_S9_iiT1_T2_lllSA_SB_lllT3_llli,"axG",@progbits,_ZL19rocblas_geam_deviceILi16ELi16E19rocblas_complex_numIfEPKPKS1_PKPS1_Ev18rocblas_operation_S9_iiT1_T2_lllSA_SB_lllT3_llli,comdat
	.globl	_ZL19rocblas_geam_deviceILi16ELi16E19rocblas_complex_numIfEPKPKS1_PKPS1_Ev18rocblas_operation_S9_iiT1_T2_lllSA_SB_lllT3_llli ; -- Begin function _ZL19rocblas_geam_deviceILi16ELi16E19rocblas_complex_numIfEPKPKS1_PKPS1_Ev18rocblas_operation_S9_iiT1_T2_lllSA_SB_lllT3_llli
	.p2align	8
	.type	_ZL19rocblas_geam_deviceILi16ELi16E19rocblas_complex_numIfEPKPKS1_PKPS1_Ev18rocblas_operation_S9_iiT1_T2_lllSA_SB_lllT3_llli,@function
_ZL19rocblas_geam_deviceILi16ELi16E19rocblas_complex_numIfEPKPKS1_PKPS1_Ev18rocblas_operation_S9_iiT1_T2_lllSA_SB_lllT3_llli: ; @_ZL19rocblas_geam_deviceILi16ELi16E19rocblas_complex_numIfEPKPKS1_PKPS1_Ev18rocblas_operation_S9_iiT1_T2_lllSA_SB_lllT3_llli
; %bb.0:
	s_load_b32 s30, s[0:1], 0x80
	s_bfe_u32 s2, ttmp6, 0x40014
	s_lshr_b32 s3, ttmp7, 16
	s_add_co_i32 s2, s2, 1
	s_bfe_u32 s5, ttmp6, 0x40008
	s_mul_i32 s4, s3, s2
	s_getreg_b32 s2, hwreg(HW_REG_IB_STS2, 6, 4)
	s_add_co_i32 s5, s5, s4
	s_cmp_eq_u32 s2, 0
	s_mov_b32 s21, 0
	s_cselect_b32 s20, s3, s5
	s_wait_kmcnt 0x0
	s_cmp_ge_u32 s20, s30
	s_cbranch_scc1 .LBB61_15
; %bb.1:
	s_clause 0x1
	s_load_b128 s[16:19], s[0:1], 0x0
	s_load_b64 s[22:23], s[0:1], 0x10
	s_bfe_u32 s6, ttmp6, 0x4000c
	s_and_b32 s5, ttmp6, 15
	s_add_co_i32 s6, s6, 1
	s_load_b64 s[34:35], s[0:1], 0x70
	s_mul_i32 s6, ttmp9, s6
	s_clause 0x1
	s_load_b64 s[24:25], s[0:1], 0x38
	s_load_b128 s[12:15], s[0:1], 0x40
	s_add_co_i32 s5, s5, s6
	s_load_b64 s[28:29], s[0:1], 0x50
	s_wait_kmcnt 0x0
	s_add_co_i32 s3, s18, -1
	s_delay_alu instid0(SALU_CYCLE_1) | instskip(NEXT) | instid1(SALU_CYCLE_1)
	s_ashr_i32 s4, s3, 31
	s_lshr_b32 s4, s4, 28
	s_delay_alu instid0(SALU_CYCLE_1) | instskip(NEXT) | instid1(SALU_CYCLE_1)
	s_add_co_i32 s3, s3, s4
	s_ashr_i32 s3, s3, 4
	s_delay_alu instid0(SALU_CYCLE_1) | instskip(SKIP_2) | instid1(SALU_CYCLE_3)
	s_add_co_i32 s8, s3, 1
	s_not_b32 s3, s3
	s_cvt_f32_u32 s4, s8
	v_rcp_iflag_f32_e32 v1, s4
	v_nop
	s_delay_alu instid0(TRANS32_DEP_1) | instskip(SKIP_3) | instid1(SALU_CYCLE_3)
	v_readfirstlane_b32 s4, v1
	v_bfe_u32 v1, v0, 10, 10
	v_and_b32_e32 v0, 0x3ff, v0
	s_mul_f32 s4, s4, 0x4f7ffffe
	s_cvt_u32_f32 s4, s4
	s_delay_alu instid0(SALU_CYCLE_3) | instskip(NEXT) | instid1(SALU_CYCLE_1)
	s_mul_i32 s3, s3, s4
	s_mul_hi_u32 s3, s4, s3
	s_delay_alu instid0(SALU_CYCLE_1) | instskip(SKIP_2) | instid1(SALU_CYCLE_1)
	s_add_co_i32 s4, s4, s3
	s_cmp_eq_u32 s2, 0
	s_cselect_b32 s2, ttmp9, s5
	s_mul_hi_u32 s3, s2, s4
	s_clause 0x1
	s_load_b128 s[4:7], s[0:1], 0x18
	s_load_b64 s[26:27], s[0:1], 0x28
	s_mul_i32 s9, s3, s8
	s_add_co_i32 s10, s3, 1
	s_sub_co_i32 s9, s2, s9
	s_delay_alu instid0(SALU_CYCLE_1)
	s_sub_co_i32 s11, s9, s8
	s_cmp_ge_u32 s9, s8
	s_cselect_b32 s3, s10, s3
	s_cselect_b32 s9, s11, s9
	s_add_co_i32 s10, s3, 1
	s_cmp_ge_u32 s9, s8
	s_cselect_b32 s3, s10, s3
	s_delay_alu instid0(SALU_CYCLE_1)
	v_lshl_add_u32 v4, s3, 4, v1
	s_mul_i32 s8, s3, s8
	s_or_b32 s3, s22, s23
	s_sub_co_i32 s2, s2, s8
	s_bitset0_b32 s3, 31
	v_lshl_add_u32 v0, s2, 4, v0
	v_ashrrev_i32_e32 v5, 31, v4
	v_cmp_gt_i32_e32 vcc_lo, s19, v4
	s_load_b128 s[8:11], s[0:1], 0x60
	s_mov_b32 s19, s22
	v_cmp_gt_i32_e64 s2, s18, v0
	s_wait_kmcnt 0x0
	v_mad_nc_u64_u32 v[6:7], s26, v0, v[4:5]
	v_ashrrev_i32_e32 v1, 31, v0
	v_mul_u64_e32 v[2:3], s[34:35], v[4:5]
	s_mov_b32 s18, s23
	s_and_b32 s31, s2, vcc_lo
	s_cmp_lg_u32 s3, 0
	v_mad_nc_u64_u32 v[10:11], s26, v4, v[0:1]
	s_cselect_b32 s33, -1, 0
	s_cmp_eq_u32 s3, 0
	s_mov_b32 s2, s25
	s_cselect_b32 s34, -1, 0
	v_mad_u32 v7, s27, v0, v7
	s_or_b32 s0, s24, s25
	s_mov_b32 s3, s24
	s_bitset0_b32 s0, 31
	s_delay_alu instid0(SALU_CYCLE_1) | instskip(NEXT) | instid1(VALU_DEP_2)
	s_cmp_lg_u32 s0, 0
	v_mad_u32 v11, s27, v4, v11
	s_cselect_b32 s27, -1, 0
	s_cmp_eq_u32 s16, 0x6f
	s_cselect_b32 vcc_lo, -1, 0
	s_cmp_eq_u32 s17, 0x6f
	v_cndmask_b32_e32 v6, v6, v10, vcc_lo
	v_mad_u32 v7, s26, v1, v7
	v_mad_nc_u64_u32 v[12:13], s28, v4, v[0:1]
	s_cselect_b32 s0, -1, 0
	s_cmp_eq_u32 s16, 0x71
	s_delay_alu instid0(VALU_DEP_4) | instskip(SKIP_2) | instid1(VALU_DEP_1)
	v_mad_u32 v11, s26, v5, v11
	s_cselect_b32 s26, -1, 0
	s_cmp_eq_u32 s17, 0x71
	v_cndmask_b32_e32 v7, v7, v11, vcc_lo
	v_mad_nc_u64_u32 v[8:9], s28, v0, v[4:5]
	s_delay_alu instid0(VALU_DEP_4) | instskip(NEXT) | instid1(VALU_DEP_2)
	v_mad_u32 v4, s29, v4, v13
	v_mad_u32 v9, s29, v0, v9
	s_delay_alu instid0(VALU_DEP_2) | instskip(NEXT) | instid1(VALU_DEP_2)
	v_mad_u32 v4, s28, v5, v4
	v_mad_u32 v9, s28, v1, v9
	s_cselect_b32 s28, -1, 0
	s_lshl_b64 s[10:11], s[10:11], 3
	s_delay_alu instid0(VALU_DEP_1)
	v_cndmask_b32_e64 v5, v9, v4, s0
	v_cndmask_b32_e64 v4, v8, v12, s0
	s_lshl_b64 s[0:1], s[6:7], 3
	s_lshl_b64 s[6:7], s[14:15], 3
	s_branch .LBB61_4
.LBB61_2:                               ;   in Loop: Header=BB61_4 Depth=1
	s_lshl_b64 s[14:15], s[20:21], 3
	v_mov_b64_e32 v[14:15], s[2:3]
	s_add_nc_u64 s[14:15], s[8:9], s[14:15]
	s_wait_loadcnt_dscnt 0x0
	v_dual_cndmask_b32 v12, v11, -v11, s28 :: v_dual_cndmask_b32 v16, v9, -v9, s26
	s_load_b64 s[14:15], s[14:15], 0x0
	v_mov_b64_e32 v[18:19], s[18:19]
	v_mov_b64_e32 v[20:21], s[24:25]
	s_delay_alu instid0(VALU_DEP_3) | instskip(SKIP_1) | instid1(VALU_DEP_4)
	v_pk_mul_f32 v[12:13], v[12:13], v[14:15] op_sel_hi:[0,1]
	v_mov_b64_e32 v[14:15], s[22:23]
	v_pk_mul_f32 v[16:17], v[16:17], v[18:19] op_sel_hi:[0,1]
	s_delay_alu instid0(VALU_DEP_3) | instskip(SKIP_1) | instid1(VALU_DEP_3)
	v_pk_fma_f32 v[18:19], v[10:11], v[20:21], v[12:13] op_sel_hi:[0,1,1]
	v_pk_fma_f32 v[10:11], v[10:11], v[20:21], v[12:13] neg_lo:[0,0,1] neg_hi:[0,0,1]
	v_pk_fma_f32 v[12:13], v[8:9], v[14:15], v[16:17] op_sel_hi:[0,1,1]
	v_pk_fma_f32 v[8:9], v[8:9], v[14:15], v[16:17] neg_lo:[0,0,1] neg_hi:[0,0,1]
	s_delay_alu instid0(VALU_DEP_2) | instskip(SKIP_3) | instid1(SALU_CYCLE_1)
	v_dual_mov_b32 v11, v19 :: v_dual_mov_b32 v9, v13
	s_wait_kmcnt 0x0
	s_wait_xcnt 0x0
	s_add_nc_u64 s[14:15], s[14:15], s[10:11]
	v_lshl_add_u64 v[14:15], v[2:3], 3, s[14:15]
	v_pk_add_f32 v[8:9], v[8:9], v[10:11]
	s_delay_alu instid0(VALU_DEP_2)
	v_lshl_add_u64 v[12:13], v[0:1], 3, v[14:15]
	flat_store_b64 v[12:13], v[8:9]
.LBB61_3:                               ;   in Loop: Header=BB61_4 Depth=1
	s_wait_xcnt 0x0
	s_or_b32 exec_lo, exec_lo, s29
	s_add_co_i32 s20, s20, 0x10000
	s_delay_alu instid0(SALU_CYCLE_1)
	s_cmp_lt_u32 s20, s30
	s_cbranch_scc0 .LBB61_15
.LBB61_4:                               ; =>This Inner Loop Header: Depth=1
	s_and_saveexec_b32 s29, s31
	s_cbranch_execz .LBB61_3
; %bb.5:                                ;   in Loop: Header=BB61_4 Depth=1
	s_and_not1_b32 vcc_lo, exec_lo, s34
	s_cbranch_vccnz .LBB61_7
; %bb.6:                                ;   in Loop: Header=BB61_4 Depth=1
	s_mov_b64 s[14:15], 0
	s_mov_b64 s[16:17], 0
	s_cbranch_execz .LBB61_8
	s_branch .LBB61_9
.LBB61_7:                               ;   in Loop: Header=BB61_4 Depth=1
	s_mov_b64 s[14:15], 0
	s_mov_b64 s[16:17], 0
.LBB61_8:                               ;   in Loop: Header=BB61_4 Depth=1
	s_lshl_b64 s[16:17], s[20:21], 3
	s_delay_alu instid0(SALU_CYCLE_1)
	s_add_nc_u64 s[16:17], s[4:5], s[16:17]
	s_load_b64 s[16:17], s[16:17], 0x0
	s_wait_kmcnt 0x0
	s_wait_xcnt 0x0
	s_add_nc_u64 s[16:17], s[16:17], s[0:1]
.LBB61_9:                               ;   in Loop: Header=BB61_4 Depth=1
	s_and_not1_b32 vcc_lo, exec_lo, s27
	s_cbranch_vccnz .LBB61_11
; %bb.10:                               ;   in Loop: Header=BB61_4 Depth=1
	s_lshl_b64 s[14:15], s[20:21], 3
	s_delay_alu instid0(SALU_CYCLE_1)
	s_add_nc_u64 s[14:15], s[12:13], s[14:15]
	s_load_b64 s[14:15], s[14:15], 0x0
	s_wait_kmcnt 0x0
	s_wait_xcnt 0x0
	s_add_nc_u64 s[14:15], s[14:15], s[6:7]
.LBB61_11:                              ;   in Loop: Header=BB61_4 Depth=1
	v_dual_mov_b32 v10, 0 :: v_dual_mov_b32 v8, 0
	v_mov_b32_e32 v9, 0
	s_and_not1_b32 vcc_lo, exec_lo, s33
	s_cbranch_vccnz .LBB61_13
; %bb.12:                               ;   in Loop: Header=BB61_4 Depth=1
	v_lshl_add_u64 v[8:9], v[6:7], 3, s[16:17]
	flat_load_b64 v[8:9], v[8:9]
.LBB61_13:                              ;   in Loop: Header=BB61_4 Depth=1
	v_mov_b32_e32 v11, 0
	s_and_not1_b32 vcc_lo, exec_lo, s27
	s_cbranch_vccnz .LBB61_2
; %bb.14:                               ;   in Loop: Header=BB61_4 Depth=1
	v_lshl_add_u64 v[10:11], v[4:5], 3, s[14:15]
	flat_load_b64 v[10:11], v[10:11]
	s_branch .LBB61_2
.LBB61_15:
	s_endpgm
	.section	.rodata,"a",@progbits
	.p2align	6, 0x0
	.amdhsa_kernel _ZL19rocblas_geam_deviceILi16ELi16E19rocblas_complex_numIfEPKPKS1_PKPS1_Ev18rocblas_operation_S9_iiT1_T2_lllSA_SB_lllT3_llli
		.amdhsa_group_segment_fixed_size 0
		.amdhsa_private_segment_fixed_size 0
		.amdhsa_kernarg_size 132
		.amdhsa_user_sgpr_count 2
		.amdhsa_user_sgpr_dispatch_ptr 0
		.amdhsa_user_sgpr_queue_ptr 0
		.amdhsa_user_sgpr_kernarg_segment_ptr 1
		.amdhsa_user_sgpr_dispatch_id 0
		.amdhsa_user_sgpr_kernarg_preload_length 0
		.amdhsa_user_sgpr_kernarg_preload_offset 0
		.amdhsa_user_sgpr_private_segment_size 0
		.amdhsa_wavefront_size32 1
		.amdhsa_uses_dynamic_stack 0
		.amdhsa_enable_private_segment 0
		.amdhsa_system_sgpr_workgroup_id_x 1
		.amdhsa_system_sgpr_workgroup_id_y 0
		.amdhsa_system_sgpr_workgroup_id_z 1
		.amdhsa_system_sgpr_workgroup_info 0
		.amdhsa_system_vgpr_workitem_id 1
		.amdhsa_next_free_vgpr 22
		.amdhsa_next_free_sgpr 36
		.amdhsa_named_barrier_count 0
		.amdhsa_reserve_vcc 1
		.amdhsa_float_round_mode_32 0
		.amdhsa_float_round_mode_16_64 0
		.amdhsa_float_denorm_mode_32 3
		.amdhsa_float_denorm_mode_16_64 3
		.amdhsa_fp16_overflow 0
		.amdhsa_memory_ordered 1
		.amdhsa_forward_progress 1
		.amdhsa_inst_pref_size 9
		.amdhsa_round_robin_scheduling 0
		.amdhsa_exception_fp_ieee_invalid_op 0
		.amdhsa_exception_fp_denorm_src 0
		.amdhsa_exception_fp_ieee_div_zero 0
		.amdhsa_exception_fp_ieee_overflow 0
		.amdhsa_exception_fp_ieee_underflow 0
		.amdhsa_exception_fp_ieee_inexact 0
		.amdhsa_exception_int_div_zero 0
	.end_amdhsa_kernel
	.section	.text._ZL19rocblas_geam_deviceILi16ELi16E19rocblas_complex_numIfEPKPKS1_PKPS1_Ev18rocblas_operation_S9_iiT1_T2_lllSA_SB_lllT3_llli,"axG",@progbits,_ZL19rocblas_geam_deviceILi16ELi16E19rocblas_complex_numIfEPKPKS1_PKPS1_Ev18rocblas_operation_S9_iiT1_T2_lllSA_SB_lllT3_llli,comdat
.Lfunc_end61:
	.size	_ZL19rocblas_geam_deviceILi16ELi16E19rocblas_complex_numIfEPKPKS1_PKPS1_Ev18rocblas_operation_S9_iiT1_T2_lllSA_SB_lllT3_llli, .Lfunc_end61-_ZL19rocblas_geam_deviceILi16ELi16E19rocblas_complex_numIfEPKPKS1_PKPS1_Ev18rocblas_operation_S9_iiT1_T2_lllSA_SB_lllT3_llli
                                        ; -- End function
	.set _ZL19rocblas_geam_deviceILi16ELi16E19rocblas_complex_numIfEPKPKS1_PKPS1_Ev18rocblas_operation_S9_iiT1_T2_lllSA_SB_lllT3_llli.num_vgpr, 22
	.set _ZL19rocblas_geam_deviceILi16ELi16E19rocblas_complex_numIfEPKPKS1_PKPS1_Ev18rocblas_operation_S9_iiT1_T2_lllSA_SB_lllT3_llli.num_agpr, 0
	.set _ZL19rocblas_geam_deviceILi16ELi16E19rocblas_complex_numIfEPKPKS1_PKPS1_Ev18rocblas_operation_S9_iiT1_T2_lllSA_SB_lllT3_llli.numbered_sgpr, 36
	.set _ZL19rocblas_geam_deviceILi16ELi16E19rocblas_complex_numIfEPKPKS1_PKPS1_Ev18rocblas_operation_S9_iiT1_T2_lllSA_SB_lllT3_llli.num_named_barrier, 0
	.set _ZL19rocblas_geam_deviceILi16ELi16E19rocblas_complex_numIfEPKPKS1_PKPS1_Ev18rocblas_operation_S9_iiT1_T2_lllSA_SB_lllT3_llli.private_seg_size, 0
	.set _ZL19rocblas_geam_deviceILi16ELi16E19rocblas_complex_numIfEPKPKS1_PKPS1_Ev18rocblas_operation_S9_iiT1_T2_lllSA_SB_lllT3_llli.uses_vcc, 1
	.set _ZL19rocblas_geam_deviceILi16ELi16E19rocblas_complex_numIfEPKPKS1_PKPS1_Ev18rocblas_operation_S9_iiT1_T2_lllSA_SB_lllT3_llli.uses_flat_scratch, 0
	.set _ZL19rocblas_geam_deviceILi16ELi16E19rocblas_complex_numIfEPKPKS1_PKPS1_Ev18rocblas_operation_S9_iiT1_T2_lllSA_SB_lllT3_llli.has_dyn_sized_stack, 0
	.set _ZL19rocblas_geam_deviceILi16ELi16E19rocblas_complex_numIfEPKPKS1_PKPS1_Ev18rocblas_operation_S9_iiT1_T2_lllSA_SB_lllT3_llli.has_recursion, 0
	.set _ZL19rocblas_geam_deviceILi16ELi16E19rocblas_complex_numIfEPKPKS1_PKPS1_Ev18rocblas_operation_S9_iiT1_T2_lllSA_SB_lllT3_llli.has_indirect_call, 0
	.section	.AMDGPU.csdata,"",@progbits
; Kernel info:
; codeLenInByte = 1060
; TotalNumSgprs: 38
; NumVgprs: 22
; ScratchSize: 0
; MemoryBound: 0
; FloatMode: 240
; IeeeMode: 1
; LDSByteSize: 0 bytes/workgroup (compile time only)
; SGPRBlocks: 0
; VGPRBlocks: 1
; NumSGPRsForWavesPerEU: 38
; NumVGPRsForWavesPerEU: 22
; NamedBarCnt: 0
; Occupancy: 16
; WaveLimiterHint : 1
; COMPUTE_PGM_RSRC2:SCRATCH_EN: 0
; COMPUTE_PGM_RSRC2:USER_SGPR: 2
; COMPUTE_PGM_RSRC2:TRAP_HANDLER: 0
; COMPUTE_PGM_RSRC2:TGID_X_EN: 1
; COMPUTE_PGM_RSRC2:TGID_Y_EN: 0
; COMPUTE_PGM_RSRC2:TGID_Z_EN: 1
; COMPUTE_PGM_RSRC2:TIDIG_COMP_CNT: 1
	.section	.text._ZL19rocblas_geam_deviceILi16ELi16EPK19rocblas_complex_numIfEPKS3_PKPS1_Ev18rocblas_operation_S9_iiT1_T2_lllSA_SB_lllT3_llli,"axG",@progbits,_ZL19rocblas_geam_deviceILi16ELi16EPK19rocblas_complex_numIfEPKS3_PKPS1_Ev18rocblas_operation_S9_iiT1_T2_lllSA_SB_lllT3_llli,comdat
	.globl	_ZL19rocblas_geam_deviceILi16ELi16EPK19rocblas_complex_numIfEPKS3_PKPS1_Ev18rocblas_operation_S9_iiT1_T2_lllSA_SB_lllT3_llli ; -- Begin function _ZL19rocblas_geam_deviceILi16ELi16EPK19rocblas_complex_numIfEPKS3_PKPS1_Ev18rocblas_operation_S9_iiT1_T2_lllSA_SB_lllT3_llli
	.p2align	8
	.type	_ZL19rocblas_geam_deviceILi16ELi16EPK19rocblas_complex_numIfEPKS3_PKPS1_Ev18rocblas_operation_S9_iiT1_T2_lllSA_SB_lllT3_llli,@function
_ZL19rocblas_geam_deviceILi16ELi16EPK19rocblas_complex_numIfEPKS3_PKPS1_Ev18rocblas_operation_S9_iiT1_T2_lllSA_SB_lllT3_llli: ; @_ZL19rocblas_geam_deviceILi16ELi16EPK19rocblas_complex_numIfEPKS3_PKPS1_Ev18rocblas_operation_S9_iiT1_T2_lllSA_SB_lllT3_llli
; %bb.0:
	s_load_b32 s28, s[0:1], 0x80
	s_bfe_u32 s2, ttmp6, 0x40014
	s_lshr_b32 s3, ttmp7, 16
	s_add_co_i32 s2, s2, 1
	s_bfe_u32 s5, ttmp6, 0x40008
	s_mul_i32 s2, s3, s2
	s_getreg_b32 s4, hwreg(HW_REG_IB_STS2, 6, 4)
	s_add_co_i32 s5, s5, s2
	s_cmp_eq_u32 s4, 0
	s_cselect_b32 s2, s3, s5
	s_mov_b32 s3, 0
	s_wait_kmcnt 0x0
	s_cmp_ge_u32 s2, s28
	s_cbranch_scc1 .LBB62_15
; %bb.1:
	s_load_b128 s[24:27], s[0:1], 0x0
	s_bfe_u32 s8, ttmp6, 0x4000c
	s_and_b32 s7, ttmp6, 15
	s_add_co_i32 s8, s8, 1
	s_load_b256 s[12:19], s[0:1], 0x38
	s_mul_i32 s8, ttmp9, s8
	v_mov_b32_e32 v16, 0
	s_add_co_i32 s7, s7, s8
	s_wait_kmcnt 0x0
	s_add_co_i32 s5, s26, -1
	s_delay_alu instid0(SALU_CYCLE_1) | instskip(NEXT) | instid1(SALU_CYCLE_1)
	s_ashr_i32 s6, s5, 31
	s_lshr_b32 s6, s6, 28
	s_delay_alu instid0(SALU_CYCLE_1) | instskip(NEXT) | instid1(SALU_CYCLE_1)
	s_add_co_i32 s5, s5, s6
	s_ashr_i32 s5, s5, 4
	s_delay_alu instid0(SALU_CYCLE_1) | instskip(SKIP_2) | instid1(SALU_CYCLE_3)
	s_add_co_i32 s20, s5, 1
	s_not_b32 s5, s5
	s_cvt_f32_u32 s6, s20
	v_rcp_iflag_f32_e32 v1, s6
	v_nop
	s_delay_alu instid0(TRANS32_DEP_1) | instskip(SKIP_3) | instid1(SALU_CYCLE_3)
	v_readfirstlane_b32 s6, v1
	v_bfe_u32 v1, v0, 10, 10
	v_and_b32_e32 v0, 0x3ff, v0
	s_mul_f32 s6, s6, 0x4f7ffffe
	s_cvt_u32_f32 s6, s6
	s_delay_alu instid0(SALU_CYCLE_3) | instskip(NEXT) | instid1(SALU_CYCLE_1)
	s_mul_i32 s5, s5, s6
	s_mul_hi_u32 s5, s6, s5
	s_delay_alu instid0(SALU_CYCLE_1) | instskip(SKIP_2) | instid1(SALU_CYCLE_1)
	s_add_co_i32 s6, s6, s5
	s_cmp_eq_u32 s4, 0
	s_cselect_b32 s21, ttmp9, s7
	s_mul_hi_u32 s22, s21, s6
	s_load_b256 s[4:11], s[0:1], 0x10
	s_mul_i32 s23, s22, s20
	s_add_co_i32 s29, s22, 1
	s_sub_co_i32 s23, s21, s23
	s_delay_alu instid0(SALU_CYCLE_1)
	s_sub_co_i32 s30, s23, s20
	s_cmp_ge_u32 s23, s20
	s_cselect_b32 s22, s29, s22
	s_cselect_b32 s23, s30, s23
	s_add_co_i32 s29, s22, 1
	s_cmp_ge_u32 s23, s20
	s_load_b64 s[30:31], s[0:1], 0x70
	s_cselect_b32 s22, s29, s22
	s_delay_alu instid0(SALU_CYCLE_1) | instskip(SKIP_2) | instid1(SALU_CYCLE_1)
	s_mul_i32 s20, s22, s20
	v_lshl_add_u32 v4, s22, 4, v1
	s_sub_co_i32 s20, s21, s20
	v_lshl_add_u32 v0, s20, 4, v0
	s_load_b128 s[20:23], s[0:1], 0x60
	s_delay_alu instid0(VALU_DEP_2) | instskip(SKIP_1) | instid1(VALU_DEP_2)
	v_cmp_gt_i32_e32 vcc_lo, s27, v4
	s_wait_xcnt 0x0
	v_cmp_gt_i32_e64 s0, s26, v0
	s_and_b32 s26, s0, vcc_lo
	s_cmp_eq_u32 s24, 0x6f
	s_cselect_b32 vcc_lo, -1, 0
	v_ashrrev_i32_e32 v5, 31, v4
	s_cmp_eq_u32 s25, 0x6f
	s_cselect_b32 s0, -1, 0
	s_cmp_eq_u32 s24, 0x71
	s_wait_kmcnt 0x0
	v_mad_nc_u64_u32 v[6:7], s10, v0, v[4:5]
	v_ashrrev_i32_e32 v1, 31, v0
	s_cselect_b32 s24, -1, 0
	s_cmp_eq_u32 s25, 0x71
	s_cselect_b32 s25, -1, 0
	s_delay_alu instid0(VALU_DEP_1) | instskip(SKIP_1) | instid1(VALU_DEP_3)
	v_mad_nc_u64_u32 v[10:11], s10, v4, v[0:1]
	s_lshl_b64 s[8:9], s[8:9], 3
	v_mad_u32 v7, s11, v0, v7
	s_delay_alu instid0(VALU_DEP_2) | instskip(NEXT) | instid1(VALU_DEP_3)
	v_mad_u32 v11, s11, v4, v11
	v_cndmask_b32_e32 v6, v6, v10, vcc_lo
	v_mad_nc_u64_u32 v[12:13], s18, v4, v[0:1]
	s_delay_alu instid0(VALU_DEP_4) | instskip(NEXT) | instid1(VALU_DEP_4)
	v_mad_u32 v7, s10, v1, v7
	v_mad_u32 v11, s10, v5, v11
	s_lshl_b64 s[10:11], s[16:17], 3
	s_lshl_b64 s[16:17], s[22:23], 3
	s_delay_alu instid0(VALU_DEP_1) | instskip(SKIP_3) | instid1(VALU_DEP_3)
	v_cndmask_b32_e32 v7, v7, v11, vcc_lo
	v_mad_nc_u64_u32 v[8:9], s18, v0, v[4:5]
	v_mul_u64_e32 v[2:3], s[30:31], v[4:5]
	v_mad_u32 v4, s19, v4, v13
	v_mad_u32 v9, s19, v0, v9
	s_delay_alu instid0(VALU_DEP_2) | instskip(NEXT) | instid1(VALU_DEP_2)
	v_mad_u32 v4, s18, v5, v4
	v_mad_u32 v9, s18, v1, v9
	s_delay_alu instid0(VALU_DEP_1)
	v_cndmask_b32_e64 v5, v9, v4, s0
	v_cndmask_b32_e64 v4, v8, v12, s0
	s_branch .LBB62_4
.LBB62_2:                               ;   in Loop: Header=BB62_4 Depth=1
	s_lshl_b64 s[0:1], s[2:3], 3
	s_wait_loadcnt_dscnt 0x0
	v_dual_cndmask_b32 v18, v15, -v15, s25 :: v_dual_cndmask_b32 v20, v13, -v13, s24
	s_add_nc_u64 s[0:1], s[20:21], s[0:1]
	s_load_b64 s[0:1], s[0:1], 0x0
	s_delay_alu instid0(VALU_DEP_1) | instskip(NEXT) | instid1(VALU_DEP_2)
	v_pk_mul_f32 v[18:19], v[18:19], v[10:11] op_sel:[0,1] op_sel_hi:[0,0]
	v_pk_mul_f32 v[20:21], v[20:21], v[8:9] op_sel:[0,1] op_sel_hi:[0,0]
	s_delay_alu instid0(VALU_DEP_2) | instskip(SKIP_1) | instid1(VALU_DEP_3)
	v_pk_fma_f32 v[22:23], v[14:15], v[10:11], v[18:19] op_sel_hi:[0,1,1]
	v_pk_fma_f32 v[10:11], v[14:15], v[10:11], v[18:19] neg_lo:[0,0,1] neg_hi:[0,0,1]
	v_pk_fma_f32 v[14:15], v[12:13], v[8:9], v[20:21] op_sel_hi:[0,1,1]
	v_pk_fma_f32 v[8:9], v[12:13], v[8:9], v[20:21] neg_lo:[0,0,1] neg_hi:[0,0,1]
	s_delay_alu instid0(VALU_DEP_2) | instskip(NEXT) | instid1(VALU_DEP_1)
	v_dual_mov_b32 v11, v23 :: v_dual_mov_b32 v9, v15
	v_pk_add_f32 v[8:9], v[8:9], v[10:11]
	s_wait_kmcnt 0x0
	s_wait_xcnt 0x0
	s_add_nc_u64 s[0:1], s[0:1], s[16:17]
	s_delay_alu instid0(SALU_CYCLE_1) | instskip(NEXT) | instid1(VALU_DEP_1)
	v_lshl_add_u64 v[12:13], v[2:3], 3, s[0:1]
	v_lshl_add_u64 v[12:13], v[0:1], 3, v[12:13]
	flat_store_b64 v[12:13], v[8:9]
.LBB62_3:                               ;   in Loop: Header=BB62_4 Depth=1
	s_wait_xcnt 0x0
	s_or_b32 exec_lo, exec_lo, s27
	s_add_co_i32 s2, s2, 0x10000
	s_delay_alu instid0(SALU_CYCLE_1)
	s_cmp_lt_u32 s2, s28
	s_cbranch_scc0 .LBB62_15
.LBB62_4:                               ; =>This Inner Loop Header: Depth=1
	s_and_saveexec_b32 s27, s26
	s_cbranch_execz .LBB62_3
; %bb.5:                                ;   in Loop: Header=BB62_4 Depth=1
	s_clause 0x1
	global_load_b64 v[8:9], v16, s[4:5]
	global_load_b64 v[10:11], v16, s[12:13]
	s_wait_loadcnt 0x1
	v_or_b32_e32 v12, v8, v9
	s_delay_alu instid0(VALU_DEP_1) | instskip(NEXT) | instid1(VALU_DEP_1)
	v_and_b32_e32 v12, 0x7fffffff, v12
	v_cmp_ne_u32_e64 s0, 0, v12
	s_and_b32 vcc_lo, exec_lo, s0
	s_cbranch_vccnz .LBB62_7
; %bb.6:                                ;   in Loop: Header=BB62_4 Depth=1
	s_mov_b64 s[18:19], 0
	s_mov_b64 s[22:23], 0
	s_cbranch_execz .LBB62_8
	s_branch .LBB62_9
.LBB62_7:                               ;   in Loop: Header=BB62_4 Depth=1
	s_mov_b64 s[18:19], 0
	s_mov_b64 s[22:23], 0
.LBB62_8:                               ;   in Loop: Header=BB62_4 Depth=1
	s_lshl_b64 s[22:23], s[2:3], 3
	s_delay_alu instid0(SALU_CYCLE_1)
	s_add_nc_u64 s[22:23], s[6:7], s[22:23]
	s_load_b64 s[22:23], s[22:23], 0x0
	s_wait_kmcnt 0x0
	s_wait_xcnt 0x0
	s_add_nc_u64 s[22:23], s[22:23], s[8:9]
.LBB62_9:                               ;   in Loop: Header=BB62_4 Depth=1
	s_wait_loadcnt 0x0
	v_or_b32_e32 v12, v10, v11
	s_delay_alu instid0(VALU_DEP_1) | instskip(NEXT) | instid1(VALU_DEP_1)
	v_and_b32_e32 v12, 0x7fffffff, v12
	v_cmp_eq_u32_e32 vcc_lo, 0, v12
	v_cmp_ne_u32_e64 s1, 0, v12
	s_cbranch_vccnz .LBB62_11
; %bb.10:                               ;   in Loop: Header=BB62_4 Depth=1
	s_lshl_b64 s[18:19], s[2:3], 3
	s_delay_alu instid0(SALU_CYCLE_1)
	s_add_nc_u64 s[18:19], s[14:15], s[18:19]
	s_load_b64 s[18:19], s[18:19], 0x0
	s_wait_kmcnt 0x0
	s_wait_xcnt 0x0
	s_add_nc_u64 s[18:19], s[18:19], s[10:11]
.LBB62_11:                              ;   in Loop: Header=BB62_4 Depth=1
	v_dual_mov_b32 v14, 0 :: v_dual_mov_b32 v12, 0
	v_mov_b32_e32 v13, 0
	s_and_not1_b32 vcc_lo, exec_lo, s0
	s_cbranch_vccnz .LBB62_13
; %bb.12:                               ;   in Loop: Header=BB62_4 Depth=1
	v_lshl_add_u64 v[12:13], v[6:7], 3, s[22:23]
	flat_load_b64 v[12:13], v[12:13]
.LBB62_13:                              ;   in Loop: Header=BB62_4 Depth=1
	v_mov_b32_e32 v15, 0
	s_and_not1_b32 vcc_lo, exec_lo, s1
	s_cbranch_vccnz .LBB62_2
; %bb.14:                               ;   in Loop: Header=BB62_4 Depth=1
	v_lshl_add_u64 v[14:15], v[4:5], 3, s[18:19]
	flat_load_b64 v[14:15], v[14:15]
	s_branch .LBB62_2
.LBB62_15:
	s_endpgm
	.section	.rodata,"a",@progbits
	.p2align	6, 0x0
	.amdhsa_kernel _ZL19rocblas_geam_deviceILi16ELi16EPK19rocblas_complex_numIfEPKS3_PKPS1_Ev18rocblas_operation_S9_iiT1_T2_lllSA_SB_lllT3_llli
		.amdhsa_group_segment_fixed_size 0
		.amdhsa_private_segment_fixed_size 0
		.amdhsa_kernarg_size 132
		.amdhsa_user_sgpr_count 2
		.amdhsa_user_sgpr_dispatch_ptr 0
		.amdhsa_user_sgpr_queue_ptr 0
		.amdhsa_user_sgpr_kernarg_segment_ptr 1
		.amdhsa_user_sgpr_dispatch_id 0
		.amdhsa_user_sgpr_kernarg_preload_length 0
		.amdhsa_user_sgpr_kernarg_preload_offset 0
		.amdhsa_user_sgpr_private_segment_size 0
		.amdhsa_wavefront_size32 1
		.amdhsa_uses_dynamic_stack 0
		.amdhsa_enable_private_segment 0
		.amdhsa_system_sgpr_workgroup_id_x 1
		.amdhsa_system_sgpr_workgroup_id_y 0
		.amdhsa_system_sgpr_workgroup_id_z 1
		.amdhsa_system_sgpr_workgroup_info 0
		.amdhsa_system_vgpr_workitem_id 1
		.amdhsa_next_free_vgpr 24
		.amdhsa_next_free_sgpr 32
		.amdhsa_named_barrier_count 0
		.amdhsa_reserve_vcc 1
		.amdhsa_float_round_mode_32 0
		.amdhsa_float_round_mode_16_64 0
		.amdhsa_float_denorm_mode_32 3
		.amdhsa_float_denorm_mode_16_64 3
		.amdhsa_fp16_overflow 0
		.amdhsa_memory_ordered 1
		.amdhsa_forward_progress 1
		.amdhsa_inst_pref_size 9
		.amdhsa_round_robin_scheduling 0
		.amdhsa_exception_fp_ieee_invalid_op 0
		.amdhsa_exception_fp_denorm_src 0
		.amdhsa_exception_fp_ieee_div_zero 0
		.amdhsa_exception_fp_ieee_overflow 0
		.amdhsa_exception_fp_ieee_underflow 0
		.amdhsa_exception_fp_ieee_inexact 0
		.amdhsa_exception_int_div_zero 0
	.end_amdhsa_kernel
	.section	.text._ZL19rocblas_geam_deviceILi16ELi16EPK19rocblas_complex_numIfEPKS3_PKPS1_Ev18rocblas_operation_S9_iiT1_T2_lllSA_SB_lllT3_llli,"axG",@progbits,_ZL19rocblas_geam_deviceILi16ELi16EPK19rocblas_complex_numIfEPKS3_PKPS1_Ev18rocblas_operation_S9_iiT1_T2_lllSA_SB_lllT3_llli,comdat
.Lfunc_end62:
	.size	_ZL19rocblas_geam_deviceILi16ELi16EPK19rocblas_complex_numIfEPKS3_PKPS1_Ev18rocblas_operation_S9_iiT1_T2_lllSA_SB_lllT3_llli, .Lfunc_end62-_ZL19rocblas_geam_deviceILi16ELi16EPK19rocblas_complex_numIfEPKS3_PKPS1_Ev18rocblas_operation_S9_iiT1_T2_lllSA_SB_lllT3_llli
                                        ; -- End function
	.set _ZL19rocblas_geam_deviceILi16ELi16EPK19rocblas_complex_numIfEPKS3_PKPS1_Ev18rocblas_operation_S9_iiT1_T2_lllSA_SB_lllT3_llli.num_vgpr, 24
	.set _ZL19rocblas_geam_deviceILi16ELi16EPK19rocblas_complex_numIfEPKS3_PKPS1_Ev18rocblas_operation_S9_iiT1_T2_lllSA_SB_lllT3_llli.num_agpr, 0
	.set _ZL19rocblas_geam_deviceILi16ELi16EPK19rocblas_complex_numIfEPKS3_PKPS1_Ev18rocblas_operation_S9_iiT1_T2_lllSA_SB_lllT3_llli.numbered_sgpr, 32
	.set _ZL19rocblas_geam_deviceILi16ELi16EPK19rocblas_complex_numIfEPKS3_PKPS1_Ev18rocblas_operation_S9_iiT1_T2_lllSA_SB_lllT3_llli.num_named_barrier, 0
	.set _ZL19rocblas_geam_deviceILi16ELi16EPK19rocblas_complex_numIfEPKS3_PKPS1_Ev18rocblas_operation_S9_iiT1_T2_lllSA_SB_lllT3_llli.private_seg_size, 0
	.set _ZL19rocblas_geam_deviceILi16ELi16EPK19rocblas_complex_numIfEPKS3_PKPS1_Ev18rocblas_operation_S9_iiT1_T2_lllSA_SB_lllT3_llli.uses_vcc, 1
	.set _ZL19rocblas_geam_deviceILi16ELi16EPK19rocblas_complex_numIfEPKS3_PKPS1_Ev18rocblas_operation_S9_iiT1_T2_lllSA_SB_lllT3_llli.uses_flat_scratch, 0
	.set _ZL19rocblas_geam_deviceILi16ELi16EPK19rocblas_complex_numIfEPKS3_PKPS1_Ev18rocblas_operation_S9_iiT1_T2_lllSA_SB_lllT3_llli.has_dyn_sized_stack, 0
	.set _ZL19rocblas_geam_deviceILi16ELi16EPK19rocblas_complex_numIfEPKS3_PKPS1_Ev18rocblas_operation_S9_iiT1_T2_lllSA_SB_lllT3_llli.has_recursion, 0
	.set _ZL19rocblas_geam_deviceILi16ELi16EPK19rocblas_complex_numIfEPKS3_PKPS1_Ev18rocblas_operation_S9_iiT1_T2_lllSA_SB_lllT3_llli.has_indirect_call, 0
	.section	.AMDGPU.csdata,"",@progbits
; Kernel info:
; codeLenInByte = 1044
; TotalNumSgprs: 34
; NumVgprs: 24
; ScratchSize: 0
; MemoryBound: 0
; FloatMode: 240
; IeeeMode: 1
; LDSByteSize: 0 bytes/workgroup (compile time only)
; SGPRBlocks: 0
; VGPRBlocks: 1
; NumSGPRsForWavesPerEU: 34
; NumVGPRsForWavesPerEU: 24
; NamedBarCnt: 0
; Occupancy: 16
; WaveLimiterHint : 1
; COMPUTE_PGM_RSRC2:SCRATCH_EN: 0
; COMPUTE_PGM_RSRC2:USER_SGPR: 2
; COMPUTE_PGM_RSRC2:TRAP_HANDLER: 0
; COMPUTE_PGM_RSRC2:TGID_X_EN: 1
; COMPUTE_PGM_RSRC2:TGID_Y_EN: 0
; COMPUTE_PGM_RSRC2:TGID_Z_EN: 1
; COMPUTE_PGM_RSRC2:TIDIG_COMP_CNT: 1
	.section	.text._ZL31rocblas_geam_zero_matrix_deviceILi16ELi16EPKP19rocblas_complex_numIdEEviiT1_llli,"axG",@progbits,_ZL31rocblas_geam_zero_matrix_deviceILi16ELi16EPKP19rocblas_complex_numIdEEviiT1_llli,comdat
	.globl	_ZL31rocblas_geam_zero_matrix_deviceILi16ELi16EPKP19rocblas_complex_numIdEEviiT1_llli ; -- Begin function _ZL31rocblas_geam_zero_matrix_deviceILi16ELi16EPKP19rocblas_complex_numIdEEviiT1_llli
	.p2align	8
	.type	_ZL31rocblas_geam_zero_matrix_deviceILi16ELi16EPKP19rocblas_complex_numIdEEviiT1_llli,@function
_ZL31rocblas_geam_zero_matrix_deviceILi16ELi16EPKP19rocblas_complex_numIdEEviiT1_llli: ; @_ZL31rocblas_geam_zero_matrix_deviceILi16ELi16EPKP19rocblas_complex_numIdEEviiT1_llli
; %bb.0:
	s_load_b32 s2, s[0:1], 0x28
	s_bfe_u32 s3, ttmp6, 0x40014
	s_lshr_b32 s4, ttmp7, 16
	s_add_co_i32 s3, s3, 1
	s_bfe_u32 s5, ttmp6, 0x40008
	s_mul_i32 s3, s4, s3
	s_getreg_b32 s8, hwreg(HW_REG_IB_STS2, 6, 4)
	s_add_co_i32 s5, s5, s3
	s_cmp_eq_u32 s8, 0
	s_cselect_b32 s3, s4, s5
	s_wait_kmcnt 0x0
	s_cmp_ge_u32 s3, s2
	s_cbranch_scc1 .LBB63_5
; %bb.1:
	s_clause 0x1
	s_load_b64 s[10:11], s[0:1], 0x0
	s_load_b128 s[4:7], s[0:1], 0x8
	s_bfe_u32 s15, ttmp6, 0x4000c
	s_and_b32 s14, ttmp6, 15
	s_add_co_i32 s15, s15, 1
	s_wait_xcnt 0x0
	s_load_b64 s[0:1], s[0:1], 0x18
	s_mul_i32 s15, ttmp9, s15
	s_delay_alu instid0(SALU_CYCLE_1) | instskip(SKIP_2) | instid1(SALU_CYCLE_1)
	s_add_co_i32 s14, s14, s15
	s_wait_kmcnt 0x0
	s_add_co_i32 s9, s10, -1
	s_ashr_i32 s12, s9, 31
	s_delay_alu instid0(SALU_CYCLE_1) | instskip(NEXT) | instid1(SALU_CYCLE_1)
	s_lshr_b32 s12, s12, 28
	s_add_co_i32 s9, s9, s12
	s_delay_alu instid0(SALU_CYCLE_1) | instskip(NEXT) | instid1(SALU_CYCLE_1)
	s_ashr_i32 s9, s9, 4
	s_add_co_i32 s12, s9, 1
	s_not_b32 s9, s9
	s_cvt_f32_u32 s13, s12
	s_delay_alu instid0(SALU_CYCLE_3) | instskip(SKIP_1) | instid1(TRANS32_DEP_1)
	v_rcp_iflag_f32_e32 v1, s13
	v_nop
	v_readfirstlane_b32 s13, v1
	v_bfe_u32 v1, v0, 10, 10
	v_and_b32_e32 v0, 0x3ff, v0
	s_mul_f32 s13, s13, 0x4f7ffffe
	s_delay_alu instid0(SALU_CYCLE_3) | instskip(NEXT) | instid1(SALU_CYCLE_3)
	s_cvt_u32_f32 s13, s13
	s_mul_i32 s9, s9, s13
	s_delay_alu instid0(SALU_CYCLE_1) | instskip(NEXT) | instid1(SALU_CYCLE_1)
	s_mul_hi_u32 s9, s13, s9
	s_add_co_i32 s13, s13, s9
	s_cmp_eq_u32 s8, 0
	s_cselect_b32 s8, ttmp9, s14
	s_delay_alu instid0(SALU_CYCLE_1) | instskip(NEXT) | instid1(SALU_CYCLE_1)
	s_mul_hi_u32 s9, s8, s13
	s_mul_i32 s13, s9, s12
	s_add_co_i32 s14, s9, 1
	s_sub_co_i32 s13, s8, s13
	s_delay_alu instid0(SALU_CYCLE_1)
	s_sub_co_i32 s15, s13, s12
	s_cmp_ge_u32 s13, s12
	s_cselect_b32 s9, s14, s9
	s_cselect_b32 s13, s15, s13
	s_add_co_i32 s14, s9, 1
	s_cmp_ge_u32 s13, s12
	s_cselect_b32 s9, s14, s9
	s_delay_alu instid0(SALU_CYCLE_1) | instskip(SKIP_1) | instid1(VALU_DEP_1)
	v_lshl_add_u32 v2, s9, 4, v1
	s_mul_i32 s9, s9, s12
	v_ashrrev_i32_e32 v3, 31, v2
	s_delay_alu instid0(VALU_DEP_1) | instskip(SKIP_1) | instid1(SALU_CYCLE_1)
	v_mul_u64_e32 v[4:5], s[0:1], v[2:3]
	s_sub_co_i32 s0, s8, s9
	v_lshl_add_u32 v6, s0, 4, v0
	v_cmp_gt_i32_e64 s0, s11, v2
	v_mov_b32_e32 v0, 0
	s_delay_alu instid0(VALU_DEP_3)
	v_cmp_gt_i32_e32 vcc_lo, s10, v6
	v_ashrrev_i32_e32 v7, 31, v6
	s_and_b32 s8, vcc_lo, s0
	s_lshl_b64 s[0:1], s[6:7], 4
	s_branch .LBB63_3
.LBB63_2:                               ;   in Loop: Header=BB63_3 Depth=1
	s_wait_xcnt 0x0
	s_or_b32 exec_lo, exec_lo, s6
	s_add_co_i32 s3, s3, 0x10000
	s_delay_alu instid0(SALU_CYCLE_1)
	s_cmp_lt_u32 s3, s2
	s_cbranch_scc0 .LBB63_5
.LBB63_3:                               ; =>This Inner Loop Header: Depth=1
	s_and_saveexec_b32 s6, s8
	s_cbranch_execz .LBB63_2
; %bb.4:                                ;   in Loop: Header=BB63_3 Depth=1
	s_load_b64 s[10:11], s[4:5], s3 offset:0x0 scale_offset
	v_dual_mov_b32 v1, v0 :: v_dual_mov_b32 v2, v0
	v_mov_b32_e32 v3, v0
	s_wait_kmcnt 0x0
	s_add_nc_u64 s[10:11], s[10:11], s[0:1]
	s_delay_alu instid0(SALU_CYCLE_1) | instskip(NEXT) | instid1(VALU_DEP_1)
	v_lshl_add_u64 v[8:9], v[4:5], 4, s[10:11]
	v_lshl_add_u64 v[8:9], v[6:7], 4, v[8:9]
	flat_store_b128 v[8:9], v[0:3]
	s_branch .LBB63_2
.LBB63_5:
	s_endpgm
	.section	.rodata,"a",@progbits
	.p2align	6, 0x0
	.amdhsa_kernel _ZL31rocblas_geam_zero_matrix_deviceILi16ELi16EPKP19rocblas_complex_numIdEEviiT1_llli
		.amdhsa_group_segment_fixed_size 0
		.amdhsa_private_segment_fixed_size 0
		.amdhsa_kernarg_size 44
		.amdhsa_user_sgpr_count 2
		.amdhsa_user_sgpr_dispatch_ptr 0
		.amdhsa_user_sgpr_queue_ptr 0
		.amdhsa_user_sgpr_kernarg_segment_ptr 1
		.amdhsa_user_sgpr_dispatch_id 0
		.amdhsa_user_sgpr_kernarg_preload_length 0
		.amdhsa_user_sgpr_kernarg_preload_offset 0
		.amdhsa_user_sgpr_private_segment_size 0
		.amdhsa_wavefront_size32 1
		.amdhsa_uses_dynamic_stack 0
		.amdhsa_enable_private_segment 0
		.amdhsa_system_sgpr_workgroup_id_x 1
		.amdhsa_system_sgpr_workgroup_id_y 0
		.amdhsa_system_sgpr_workgroup_id_z 1
		.amdhsa_system_sgpr_workgroup_info 0
		.amdhsa_system_vgpr_workitem_id 1
		.amdhsa_next_free_vgpr 10
		.amdhsa_next_free_sgpr 16
		.amdhsa_named_barrier_count 0
		.amdhsa_reserve_vcc 1
		.amdhsa_float_round_mode_32 0
		.amdhsa_float_round_mode_16_64 0
		.amdhsa_float_denorm_mode_32 3
		.amdhsa_float_denorm_mode_16_64 3
		.amdhsa_fp16_overflow 0
		.amdhsa_memory_ordered 1
		.amdhsa_forward_progress 1
		.amdhsa_inst_pref_size 4
		.amdhsa_round_robin_scheduling 0
		.amdhsa_exception_fp_ieee_invalid_op 0
		.amdhsa_exception_fp_denorm_src 0
		.amdhsa_exception_fp_ieee_div_zero 0
		.amdhsa_exception_fp_ieee_overflow 0
		.amdhsa_exception_fp_ieee_underflow 0
		.amdhsa_exception_fp_ieee_inexact 0
		.amdhsa_exception_int_div_zero 0
	.end_amdhsa_kernel
	.section	.text._ZL31rocblas_geam_zero_matrix_deviceILi16ELi16EPKP19rocblas_complex_numIdEEviiT1_llli,"axG",@progbits,_ZL31rocblas_geam_zero_matrix_deviceILi16ELi16EPKP19rocblas_complex_numIdEEviiT1_llli,comdat
.Lfunc_end63:
	.size	_ZL31rocblas_geam_zero_matrix_deviceILi16ELi16EPKP19rocblas_complex_numIdEEviiT1_llli, .Lfunc_end63-_ZL31rocblas_geam_zero_matrix_deviceILi16ELi16EPKP19rocblas_complex_numIdEEviiT1_llli
                                        ; -- End function
	.set _ZL31rocblas_geam_zero_matrix_deviceILi16ELi16EPKP19rocblas_complex_numIdEEviiT1_llli.num_vgpr, 10
	.set _ZL31rocblas_geam_zero_matrix_deviceILi16ELi16EPKP19rocblas_complex_numIdEEviiT1_llli.num_agpr, 0
	.set _ZL31rocblas_geam_zero_matrix_deviceILi16ELi16EPKP19rocblas_complex_numIdEEviiT1_llli.numbered_sgpr, 16
	.set _ZL31rocblas_geam_zero_matrix_deviceILi16ELi16EPKP19rocblas_complex_numIdEEviiT1_llli.num_named_barrier, 0
	.set _ZL31rocblas_geam_zero_matrix_deviceILi16ELi16EPKP19rocblas_complex_numIdEEviiT1_llli.private_seg_size, 0
	.set _ZL31rocblas_geam_zero_matrix_deviceILi16ELi16EPKP19rocblas_complex_numIdEEviiT1_llli.uses_vcc, 1
	.set _ZL31rocblas_geam_zero_matrix_deviceILi16ELi16EPKP19rocblas_complex_numIdEEviiT1_llli.uses_flat_scratch, 0
	.set _ZL31rocblas_geam_zero_matrix_deviceILi16ELi16EPKP19rocblas_complex_numIdEEviiT1_llli.has_dyn_sized_stack, 0
	.set _ZL31rocblas_geam_zero_matrix_deviceILi16ELi16EPKP19rocblas_complex_numIdEEviiT1_llli.has_recursion, 0
	.set _ZL31rocblas_geam_zero_matrix_deviceILi16ELi16EPKP19rocblas_complex_numIdEEviiT1_llli.has_indirect_call, 0
	.section	.AMDGPU.csdata,"",@progbits
; Kernel info:
; codeLenInByte = 472
; TotalNumSgprs: 18
; NumVgprs: 10
; ScratchSize: 0
; MemoryBound: 0
; FloatMode: 240
; IeeeMode: 1
; LDSByteSize: 0 bytes/workgroup (compile time only)
; SGPRBlocks: 0
; VGPRBlocks: 0
; NumSGPRsForWavesPerEU: 18
; NumVGPRsForWavesPerEU: 10
; NamedBarCnt: 0
; Occupancy: 16
; WaveLimiterHint : 1
; COMPUTE_PGM_RSRC2:SCRATCH_EN: 0
; COMPUTE_PGM_RSRC2:USER_SGPR: 2
; COMPUTE_PGM_RSRC2:TRAP_HANDLER: 0
; COMPUTE_PGM_RSRC2:TGID_X_EN: 1
; COMPUTE_PGM_RSRC2:TGID_Y_EN: 0
; COMPUTE_PGM_RSRC2:TGID_Z_EN: 1
; COMPUTE_PGM_RSRC2:TIDIG_COMP_CNT: 1
	.section	.text._ZL27rocblas_geam_inplace_deviceILi16ELi16E19rocblas_complex_numIdEPKPKS1_PKPS1_Ev18rocblas_operation_iiT1_SA_T2_lllT3_llli,"axG",@progbits,_ZL27rocblas_geam_inplace_deviceILi16ELi16E19rocblas_complex_numIdEPKPKS1_PKPS1_Ev18rocblas_operation_iiT1_SA_T2_lllT3_llli,comdat
	.globl	_ZL27rocblas_geam_inplace_deviceILi16ELi16E19rocblas_complex_numIdEPKPKS1_PKPS1_Ev18rocblas_operation_iiT1_SA_T2_lllT3_llli ; -- Begin function _ZL27rocblas_geam_inplace_deviceILi16ELi16E19rocblas_complex_numIdEPKPKS1_PKPS1_Ev18rocblas_operation_iiT1_SA_T2_lllT3_llli
	.p2align	8
	.type	_ZL27rocblas_geam_inplace_deviceILi16ELi16E19rocblas_complex_numIdEPKPKS1_PKPS1_Ev18rocblas_operation_iiT1_SA_T2_lllT3_llli,@function
_ZL27rocblas_geam_inplace_deviceILi16ELi16E19rocblas_complex_numIdEPKPKS1_PKPS1_Ev18rocblas_operation_iiT1_SA_T2_lllT3_llli: ; @_ZL27rocblas_geam_inplace_deviceILi16ELi16E19rocblas_complex_numIdEPKPKS1_PKPS1_Ev18rocblas_operation_iiT1_SA_T2_lllT3_llli
; %bb.0:
	s_load_b32 s23, s[0:1], 0x70
	s_bfe_u32 s2, ttmp6, 0x40014
	s_lshr_b32 s3, ttmp7, 16
	s_add_co_i32 s2, s2, 1
	s_bfe_u32 s5, ttmp6, 0x40008
	s_mul_i32 s2, s3, s2
	s_getreg_b32 s4, hwreg(HW_REG_IB_STS2, 6, 4)
	s_add_co_i32 s5, s5, s2
	s_cmp_eq_u32 s4, 0
	s_cselect_b32 s2, s3, s5
	s_mov_b32 s3, 0
	s_wait_kmcnt 0x0
	s_cmp_ge_u32 s2, s23
	s_cbranch_scc1 .LBB64_14
; %bb.1:
	s_clause 0x1
	s_load_b96 s[20:22], s[0:1], 0x0
	s_load_b64 s[24:25], s[0:1], 0x40
	s_bfe_u32 s8, ttmp6, 0x4000c
	s_and_b32 s7, ttmp6, 15
	s_add_co_i32 s8, s8, 1
	s_load_b64 s[26:27], s[0:1], 0x60
	s_mul_i32 s8, ttmp9, s8
	v_and_b32_e32 v2, 0x3ff, v0
	s_add_co_i32 s7, s7, s8
	s_wait_kmcnt 0x0
	s_add_co_i32 s5, s21, -1
	s_delay_alu instid0(SALU_CYCLE_1) | instskip(NEXT) | instid1(SALU_CYCLE_1)
	s_ashr_i32 s6, s5, 31
	s_lshr_b32 s6, s6, 28
	s_delay_alu instid0(SALU_CYCLE_1) | instskip(NEXT) | instid1(SALU_CYCLE_1)
	s_add_co_i32 s5, s5, s6
	s_ashr_i32 s5, s5, 4
	s_delay_alu instid0(SALU_CYCLE_1) | instskip(SKIP_2) | instid1(SALU_CYCLE_3)
	s_add_co_i32 s12, s5, 1
	s_not_b32 s5, s5
	s_cvt_f32_u32 s6, s12
	v_rcp_iflag_f32_e32 v1, s6
	v_nop
	s_delay_alu instid0(TRANS32_DEP_1) | instskip(SKIP_2) | instid1(SALU_CYCLE_3)
	v_readfirstlane_b32 s6, v1
	v_bfe_u32 v1, v0, 10, 10
	s_mul_f32 s6, s6, 0x4f7ffffe
	s_cvt_u32_f32 s6, s6
	s_delay_alu instid0(SALU_CYCLE_3) | instskip(NEXT) | instid1(SALU_CYCLE_1)
	s_mul_i32 s5, s5, s6
	s_mul_hi_u32 s5, s6, s5
	s_delay_alu instid0(SALU_CYCLE_1) | instskip(SKIP_2) | instid1(SALU_CYCLE_1)
	s_add_co_i32 s6, s6, s5
	s_cmp_eq_u32 s4, 0
	s_cselect_b32 s13, ttmp9, s7
	s_mul_hi_u32 s14, s13, s6
	s_load_b256 s[4:11], s[0:1], 0x10
	s_mul_i32 s15, s14, s12
	s_add_co_i32 s16, s14, 1
	s_sub_co_i32 s15, s13, s15
	s_delay_alu instid0(SALU_CYCLE_1)
	s_sub_co_i32 s17, s15, s12
	s_cmp_ge_u32 s15, s12
	s_cselect_b32 s14, s16, s14
	s_cselect_b32 s15, s17, s15
	s_add_co_i32 s16, s14, 1
	s_cmp_ge_u32 s15, s12
	s_cselect_b32 s14, s16, s14
	s_load_b128 s[16:19], s[0:1], 0x30
	s_mul_i32 s12, s14, s12
	v_lshl_add_u32 v0, s14, 4, v1
	s_sub_co_i32 s12, s13, s12
	s_delay_alu instid0(SALU_CYCLE_1)
	v_lshl_add_u32 v2, s12, 4, v2
	s_wait_kmcnt 0x0
	v_cmp_neq_f64_e64 s28, s[8:9], 0
	v_ashrrev_i32_e32 v1, 31, v0
	v_cmp_neq_f64_e64 s29, s[10:11], 0
	v_cmp_neq_f64_e64 s30, s[4:5], 0
	v_ashrrev_i32_e32 v3, 31, v2
	v_cmp_neq_f64_e64 s31, s[6:7], 0
	v_mad_nc_u64_u32 v[6:7], s24, v2, v[0:1]
	s_load_b128 s[12:15], s[0:1], 0x50
	v_cmp_gt_i32_e32 vcc_lo, s22, v0
	v_mad_nc_u64_u32 v[8:9], s24, v0, v[2:3]
	v_mad_nc_u64_u32 v[4:5], s26, v0, v[2:3]
	s_wait_xcnt 0x0
	v_cmp_gt_i32_e64 s0, s21, v2
	s_and_b32 s21, s0, vcc_lo
	v_mad_u32 v7, s25, v2, v7
	v_mad_u32 v9, s25, v0, v9
	;; [unrolled: 1-line block ×3, first 2 shown]
	s_delay_alu instid0(VALU_DEP_3) | instskip(NEXT) | instid1(VALU_DEP_3)
	v_mad_u32 v0, s24, v3, v7
	v_mad_u32 v2, s24, v1, v9
	s_delay_alu instid0(VALU_DEP_3)
	v_mad_u32 v5, s26, v1, v5
	s_or_b32 s1, s28, s29
	s_cmp_eq_u32 s20, 0x6f
	s_cselect_b32 vcc_lo, -1, 0
	s_cmp_eq_u32 s20, 0x71
	v_cndmask_b32_e32 v6, v6, v8, vcc_lo
	s_cselect_b32 s0, -1, 0
	s_or_b32 s20, s30, s31
	s_delay_alu instid0(VALU_DEP_3)
	v_cndmask_b32_e32 v7, v0, v2, vcc_lo
	s_wait_kmcnt 0x0
	s_lshl_b64 s[14:15], s[14:15], 4
	s_lshl_b64 s[18:19], s[18:19], 4
	s_branch .LBB64_4
.LBB64_2:                               ;   in Loop: Header=BB64_4 Depth=1
	flat_store_b128 v[8:9], v[0:3]
.LBB64_3:                               ;   in Loop: Header=BB64_4 Depth=1
	s_wait_xcnt 0x0
	s_or_b32 exec_lo, exec_lo, s22
	s_add_co_i32 s2, s2, 0x10000
	s_delay_alu instid0(SALU_CYCLE_1)
	s_cmp_lt_u32 s2, s23
	s_cbranch_scc0 .LBB64_14
.LBB64_4:                               ; =>This Inner Loop Header: Depth=1
	s_and_saveexec_b32 s22, s21
	s_cbranch_execz .LBB64_3
; %bb.5:                                ;   in Loop: Header=BB64_4 Depth=1
	s_load_b64 s[24:25], s[12:13], s2 offset:0x0 scale_offset
	s_and_b32 vcc_lo, exec_lo, s1
	s_wait_kmcnt 0x0
	s_add_nc_u64 s[24:25], s[24:25], s[14:15]
	s_delay_alu instid0(SALU_CYCLE_1)
	v_lshl_add_u64 v[8:9], v[4:5], 4, s[24:25]
	s_mov_b32 s24, -1
	s_cbranch_vccz .LBB64_11
; %bb.6:                                ;   in Loop: Header=BB64_4 Depth=1
	s_lshl_b64 s[24:25], s[2:3], 3
	s_and_b32 vcc_lo, exec_lo, s20
	s_add_nc_u64 s[24:25], s[16:17], s[24:25]
	s_load_b64 s[24:25], s[24:25], 0x0
	s_wait_kmcnt 0x0
	s_wait_xcnt 0x0
	s_add_nc_u64 s[24:25], s[24:25], s[18:19]
	s_delay_alu instid0(SALU_CYCLE_1)
	v_lshl_add_u64 v[0:1], v[6:7], 4, s[24:25]
	s_mov_b32 s24, -1
	flat_load_b128 v[10:13], v[0:1]
	s_wait_loadcnt_dscnt 0x0
	s_wait_xcnt 0x0
	v_xor_b32_e32 v0, 0x80000000, v13
	s_delay_alu instid0(VALU_DEP_1) | instskip(NEXT) | instid1(VALU_DEP_1)
	v_cndmask_b32_e64 v13, v13, v0, s0
	v_mul_f64_e32 v[0:1], s[10:11], v[12:13]
	s_delay_alu instid0(VALU_DEP_1) | instskip(SKIP_1) | instid1(VALU_DEP_1)
	v_fma_f64 v[0:1], s[8:9], v[10:11], -v[0:1]
	v_mul_f64_e32 v[2:3], s[8:9], v[12:13]
	v_fmac_f64_e32 v[2:3], s[10:11], v[10:11]
	s_cbranch_vccz .LBB64_8
; %bb.7:                                ;   in Loop: Header=BB64_4 Depth=1
	flat_load_b128 v[10:13], v[8:9]
	s_mov_b32 s24, 0
	s_wait_loadcnt_dscnt 0x0
	v_mul_f64_e32 v[14:15], s[6:7], v[12:13]
	v_mul_f64_e32 v[12:13], s[4:5], v[12:13]
	s_delay_alu instid0(VALU_DEP_2) | instskip(NEXT) | instid1(VALU_DEP_2)
	v_fma_f64 v[14:15], s[4:5], v[10:11], -v[14:15]
	v_fmac_f64_e32 v[12:13], s[6:7], v[10:11]
	s_delay_alu instid0(VALU_DEP_2) | instskip(NEXT) | instid1(VALU_DEP_2)
	v_add_f64_e32 v[10:11], v[0:1], v[14:15]
	v_add_f64_e32 v[12:13], v[2:3], v[12:13]
	flat_store_b128 v[8:9], v[10:13]
.LBB64_8:                               ;   in Loop: Header=BB64_4 Depth=1
	s_and_not1_b32 vcc_lo, exec_lo, s24
	s_cbranch_vccnz .LBB64_10
; %bb.9:                                ;   in Loop: Header=BB64_4 Depth=1
	flat_store_b128 v[8:9], v[0:3]
.LBB64_10:                              ;   in Loop: Header=BB64_4 Depth=1
	s_mov_b32 s24, 0
.LBB64_11:                              ;   in Loop: Header=BB64_4 Depth=1
	s_delay_alu instid0(SALU_CYCLE_1)
	s_and_not1_b32 vcc_lo, exec_lo, s24
	s_cbranch_vccnz .LBB64_3
; %bb.12:                               ;   in Loop: Header=BB64_4 Depth=1
	s_wait_xcnt 0x0
	v_mov_b64_e32 v[0:1], 0
	v_mov_b64_e32 v[2:3], 0
	s_and_not1_b32 vcc_lo, exec_lo, s20
	s_cbranch_vccnz .LBB64_2
; %bb.13:                               ;   in Loop: Header=BB64_4 Depth=1
	flat_load_b128 v[10:13], v[8:9]
	s_wait_loadcnt_dscnt 0x0
	v_mul_f64_e32 v[0:1], s[6:7], v[12:13]
	v_mul_f64_e32 v[2:3], s[4:5], v[12:13]
	s_delay_alu instid0(VALU_DEP_2) | instskip(NEXT) | instid1(VALU_DEP_2)
	v_fma_f64 v[0:1], s[4:5], v[10:11], -v[0:1]
	v_fmac_f64_e32 v[2:3], s[6:7], v[10:11]
	s_branch .LBB64_2
.LBB64_14:
	s_endpgm
	.section	.rodata,"a",@progbits
	.p2align	6, 0x0
	.amdhsa_kernel _ZL27rocblas_geam_inplace_deviceILi16ELi16E19rocblas_complex_numIdEPKPKS1_PKPS1_Ev18rocblas_operation_iiT1_SA_T2_lllT3_llli
		.amdhsa_group_segment_fixed_size 0
		.amdhsa_private_segment_fixed_size 0
		.amdhsa_kernarg_size 116
		.amdhsa_user_sgpr_count 2
		.amdhsa_user_sgpr_dispatch_ptr 0
		.amdhsa_user_sgpr_queue_ptr 0
		.amdhsa_user_sgpr_kernarg_segment_ptr 1
		.amdhsa_user_sgpr_dispatch_id 0
		.amdhsa_user_sgpr_kernarg_preload_length 0
		.amdhsa_user_sgpr_kernarg_preload_offset 0
		.amdhsa_user_sgpr_private_segment_size 0
		.amdhsa_wavefront_size32 1
		.amdhsa_uses_dynamic_stack 0
		.amdhsa_enable_private_segment 0
		.amdhsa_system_sgpr_workgroup_id_x 1
		.amdhsa_system_sgpr_workgroup_id_y 0
		.amdhsa_system_sgpr_workgroup_id_z 1
		.amdhsa_system_sgpr_workgroup_info 0
		.amdhsa_system_vgpr_workitem_id 1
		.amdhsa_next_free_vgpr 16
		.amdhsa_next_free_sgpr 32
		.amdhsa_named_barrier_count 0
		.amdhsa_reserve_vcc 1
		.amdhsa_float_round_mode_32 0
		.amdhsa_float_round_mode_16_64 0
		.amdhsa_float_denorm_mode_32 3
		.amdhsa_float_denorm_mode_16_64 3
		.amdhsa_fp16_overflow 0
		.amdhsa_memory_ordered 1
		.amdhsa_forward_progress 1
		.amdhsa_inst_pref_size 8
		.amdhsa_round_robin_scheduling 0
		.amdhsa_exception_fp_ieee_invalid_op 0
		.amdhsa_exception_fp_denorm_src 0
		.amdhsa_exception_fp_ieee_div_zero 0
		.amdhsa_exception_fp_ieee_overflow 0
		.amdhsa_exception_fp_ieee_underflow 0
		.amdhsa_exception_fp_ieee_inexact 0
		.amdhsa_exception_int_div_zero 0
	.end_amdhsa_kernel
	.section	.text._ZL27rocblas_geam_inplace_deviceILi16ELi16E19rocblas_complex_numIdEPKPKS1_PKPS1_Ev18rocblas_operation_iiT1_SA_T2_lllT3_llli,"axG",@progbits,_ZL27rocblas_geam_inplace_deviceILi16ELi16E19rocblas_complex_numIdEPKPKS1_PKPS1_Ev18rocblas_operation_iiT1_SA_T2_lllT3_llli,comdat
.Lfunc_end64:
	.size	_ZL27rocblas_geam_inplace_deviceILi16ELi16E19rocblas_complex_numIdEPKPKS1_PKPS1_Ev18rocblas_operation_iiT1_SA_T2_lllT3_llli, .Lfunc_end64-_ZL27rocblas_geam_inplace_deviceILi16ELi16E19rocblas_complex_numIdEPKPKS1_PKPS1_Ev18rocblas_operation_iiT1_SA_T2_lllT3_llli
                                        ; -- End function
	.set _ZL27rocblas_geam_inplace_deviceILi16ELi16E19rocblas_complex_numIdEPKPKS1_PKPS1_Ev18rocblas_operation_iiT1_SA_T2_lllT3_llli.num_vgpr, 16
	.set _ZL27rocblas_geam_inplace_deviceILi16ELi16E19rocblas_complex_numIdEPKPKS1_PKPS1_Ev18rocblas_operation_iiT1_SA_T2_lllT3_llli.num_agpr, 0
	.set _ZL27rocblas_geam_inplace_deviceILi16ELi16E19rocblas_complex_numIdEPKPKS1_PKPS1_Ev18rocblas_operation_iiT1_SA_T2_lllT3_llli.numbered_sgpr, 32
	.set _ZL27rocblas_geam_inplace_deviceILi16ELi16E19rocblas_complex_numIdEPKPKS1_PKPS1_Ev18rocblas_operation_iiT1_SA_T2_lllT3_llli.num_named_barrier, 0
	.set _ZL27rocblas_geam_inplace_deviceILi16ELi16E19rocblas_complex_numIdEPKPKS1_PKPS1_Ev18rocblas_operation_iiT1_SA_T2_lllT3_llli.private_seg_size, 0
	.set _ZL27rocblas_geam_inplace_deviceILi16ELi16E19rocblas_complex_numIdEPKPKS1_PKPS1_Ev18rocblas_operation_iiT1_SA_T2_lllT3_llli.uses_vcc, 1
	.set _ZL27rocblas_geam_inplace_deviceILi16ELi16E19rocblas_complex_numIdEPKPKS1_PKPS1_Ev18rocblas_operation_iiT1_SA_T2_lllT3_llli.uses_flat_scratch, 0
	.set _ZL27rocblas_geam_inplace_deviceILi16ELi16E19rocblas_complex_numIdEPKPKS1_PKPS1_Ev18rocblas_operation_iiT1_SA_T2_lllT3_llli.has_dyn_sized_stack, 0
	.set _ZL27rocblas_geam_inplace_deviceILi16ELi16E19rocblas_complex_numIdEPKPKS1_PKPS1_Ev18rocblas_operation_iiT1_SA_T2_lllT3_llli.has_recursion, 0
	.set _ZL27rocblas_geam_inplace_deviceILi16ELi16E19rocblas_complex_numIdEPKPKS1_PKPS1_Ev18rocblas_operation_iiT1_SA_T2_lllT3_llli.has_indirect_call, 0
	.section	.AMDGPU.csdata,"",@progbits
; Kernel info:
; codeLenInByte = 920
; TotalNumSgprs: 34
; NumVgprs: 16
; ScratchSize: 0
; MemoryBound: 0
; FloatMode: 240
; IeeeMode: 1
; LDSByteSize: 0 bytes/workgroup (compile time only)
; SGPRBlocks: 0
; VGPRBlocks: 0
; NumSGPRsForWavesPerEU: 34
; NumVGPRsForWavesPerEU: 16
; NamedBarCnt: 0
; Occupancy: 16
; WaveLimiterHint : 1
; COMPUTE_PGM_RSRC2:SCRATCH_EN: 0
; COMPUTE_PGM_RSRC2:USER_SGPR: 2
; COMPUTE_PGM_RSRC2:TRAP_HANDLER: 0
; COMPUTE_PGM_RSRC2:TGID_X_EN: 1
; COMPUTE_PGM_RSRC2:TGID_Y_EN: 0
; COMPUTE_PGM_RSRC2:TGID_Z_EN: 1
; COMPUTE_PGM_RSRC2:TIDIG_COMP_CNT: 1
	.section	.text._ZL27rocblas_geam_inplace_deviceILi16ELi16EPK19rocblas_complex_numIdEPKS3_PKPS1_Ev18rocblas_operation_iiT1_SA_T2_lllT3_llli,"axG",@progbits,_ZL27rocblas_geam_inplace_deviceILi16ELi16EPK19rocblas_complex_numIdEPKS3_PKPS1_Ev18rocblas_operation_iiT1_SA_T2_lllT3_llli,comdat
	.globl	_ZL27rocblas_geam_inplace_deviceILi16ELi16EPK19rocblas_complex_numIdEPKS3_PKPS1_Ev18rocblas_operation_iiT1_SA_T2_lllT3_llli ; -- Begin function _ZL27rocblas_geam_inplace_deviceILi16ELi16EPK19rocblas_complex_numIdEPKS3_PKPS1_Ev18rocblas_operation_iiT1_SA_T2_lllT3_llli
	.p2align	8
	.type	_ZL27rocblas_geam_inplace_deviceILi16ELi16EPK19rocblas_complex_numIdEPKS3_PKPS1_Ev18rocblas_operation_iiT1_SA_T2_lllT3_llli,@function
_ZL27rocblas_geam_inplace_deviceILi16ELi16EPK19rocblas_complex_numIdEPKS3_PKPS1_Ev18rocblas_operation_iiT1_SA_T2_lllT3_llli: ; @_ZL27rocblas_geam_inplace_deviceILi16ELi16EPK19rocblas_complex_numIdEPKS3_PKPS1_Ev18rocblas_operation_iiT1_SA_T2_lllT3_llli
; %bb.0:
	s_load_b32 s19, s[0:1], 0x60
	s_bfe_u32 s2, ttmp6, 0x40014
	s_lshr_b32 s3, ttmp7, 16
	s_add_co_i32 s2, s2, 1
	s_bfe_u32 s5, ttmp6, 0x40008
	s_mul_i32 s2, s3, s2
	s_getreg_b32 s4, hwreg(HW_REG_IB_STS2, 6, 4)
	s_add_co_i32 s5, s5, s2
	s_cmp_eq_u32 s4, 0
	s_cselect_b32 s2, s3, s5
	s_mov_b32 s3, 0
	s_wait_kmcnt 0x0
	s_cmp_ge_u32 s2, s19
	s_cbranch_scc1 .LBB65_14
; %bb.1:
	s_clause 0x1
	s_load_b96 s[16:18], s[0:1], 0x0
	s_load_b64 s[20:21], s[0:1], 0x30
	s_bfe_u32 s9, ttmp6, 0x4000c
	s_and_b32 s8, ttmp6, 15
	s_add_co_i32 s9, s9, 1
	v_and_b32_e32 v2, 0x3ff, v0
	s_mul_i32 s9, ttmp9, s9
	s_clause 0x1
	s_load_b64 s[22:23], s[0:1], 0x50
	s_load_b128 s[12:15], s[0:1], 0x40
	s_add_co_i32 s8, s8, s9
	v_mov_b32_e32 v18, 0
	s_wait_kmcnt 0x0
	s_add_co_i32 s5, s17, -1
	s_delay_alu instid0(SALU_CYCLE_1) | instskip(NEXT) | instid1(SALU_CYCLE_1)
	s_ashr_i32 s6, s5, 31
	s_lshr_b32 s6, s6, 28
	s_delay_alu instid0(SALU_CYCLE_1) | instskip(NEXT) | instid1(SALU_CYCLE_1)
	s_add_co_i32 s5, s5, s6
	s_ashr_i32 s5, s5, 4
	s_delay_alu instid0(SALU_CYCLE_1) | instskip(SKIP_2) | instid1(SALU_CYCLE_3)
	s_add_co_i32 s6, s5, 1
	s_not_b32 s5, s5
	s_cvt_f32_u32 s7, s6
	v_rcp_iflag_f32_e32 v1, s7
	v_nop
	s_delay_alu instid0(TRANS32_DEP_1) | instskip(SKIP_2) | instid1(SALU_CYCLE_3)
	v_readfirstlane_b32 s7, v1
	v_bfe_u32 v1, v0, 10, 10
	s_mul_f32 s7, s7, 0x4f7ffffe
	s_cvt_u32_f32 s7, s7
	s_delay_alu instid0(SALU_CYCLE_3) | instskip(NEXT) | instid1(SALU_CYCLE_1)
	s_mul_i32 s5, s5, s7
	s_mul_hi_u32 s5, s7, s5
	s_delay_alu instid0(SALU_CYCLE_1) | instskip(SKIP_2) | instid1(SALU_CYCLE_1)
	s_add_co_i32 s7, s7, s5
	s_cmp_eq_u32 s4, 0
	s_cselect_b32 s4, ttmp9, s8
	s_mul_hi_u32 s5, s4, s7
	s_delay_alu instid0(SALU_CYCLE_1) | instskip(SKIP_2) | instid1(SALU_CYCLE_1)
	s_mul_i32 s7, s5, s6
	s_add_co_i32 s8, s5, 1
	s_sub_co_i32 s7, s4, s7
	s_sub_co_i32 s9, s7, s6
	s_cmp_ge_u32 s7, s6
	s_cselect_b32 s5, s8, s5
	s_cselect_b32 s7, s9, s7
	s_add_co_i32 s8, s5, 1
	s_cmp_ge_u32 s7, s6
	s_cselect_b32 s5, s8, s5
	s_delay_alu instid0(SALU_CYCLE_1) | instskip(SKIP_2) | instid1(SALU_CYCLE_1)
	s_mul_i32 s6, s5, s6
	v_lshl_add_u32 v0, s5, 4, v1
	s_sub_co_i32 s4, s4, s6
	v_lshl_add_u32 v2, s4, 4, v2
	s_load_b256 s[4:11], s[0:1], 0x10
	s_delay_alu instid0(VALU_DEP_2) | instskip(SKIP_1) | instid1(VALU_DEP_3)
	v_ashrrev_i32_e32 v1, 31, v0
	v_cmp_gt_i32_e32 vcc_lo, s18, v0
	v_ashrrev_i32_e32 v3, 31, v2
	s_wait_xcnt 0x0
	v_cmp_gt_i32_e64 s0, s17, v2
	v_mad_nc_u64_u32 v[4:5], s20, v2, v[0:1]
	s_delay_alu instid0(VALU_DEP_3)
	v_mad_nc_u64_u32 v[6:7], s20, v0, v[2:3]
	v_mad_nc_u64_u32 v[12:13], s22, v0, v[2:3]
	s_and_b32 s17, s0, vcc_lo
	s_cmp_eq_u32 s16, 0x6f
	s_cselect_b32 vcc_lo, -1, 0
	s_cmp_eq_u32 s16, 0x71
	s_delay_alu instid0(VALU_DEP_3) | instskip(SKIP_2) | instid1(VALU_DEP_3)
	v_mad_u32 v5, s21, v2, v5
	s_cselect_b32 s0, -1, 0
	s_lshl_b64 s[14:15], s[14:15], 4
	v_mad_u32 v7, s21, v0, v7
	s_delay_alu instid0(VALU_DEP_3) | instskip(SKIP_3) | instid1(VALU_DEP_4)
	v_mad_u32 v8, s23, v0, v13
	v_cndmask_b32_e32 v14, v4, v6, vcc_lo
	s_wait_kmcnt 0x0
	s_lshl_b64 s[10:11], s[10:11], 4
	v_mad_u32 v0, s20, v3, v5
	s_delay_alu instid0(VALU_DEP_4) | instskip(NEXT) | instid1(VALU_DEP_4)
	v_mad_u32 v3, s20, v1, v7
	v_mad_u32 v13, s22, v1, v8
	s_delay_alu instid0(VALU_DEP_2)
	v_cndmask_b32_e32 v15, v0, v3, vcc_lo
	s_branch .LBB65_4
.LBB65_2:                               ;   in Loop: Header=BB65_4 Depth=1
	flat_store_b128 v[16:17], v[4:7]
.LBB65_3:                               ;   in Loop: Header=BB65_4 Depth=1
	s_wait_xcnt 0x0
	s_or_b32 exec_lo, exec_lo, s16
	s_add_co_i32 s2, s2, 0x10000
	s_delay_alu instid0(SALU_CYCLE_1)
	s_cmp_lt_u32 s2, s19
	s_cbranch_scc0 .LBB65_14
.LBB65_4:                               ; =>This Inner Loop Header: Depth=1
	s_and_saveexec_b32 s16, s17
	s_cbranch_execz .LBB65_3
; %bb.5:                                ;   in Loop: Header=BB65_4 Depth=1
	global_load_b128 v[4:7], v18, s[6:7]
	s_wait_loadcnt 0x1
	global_load_b128 v[0:3], v18, s[4:5]
	s_load_b64 s[20:21], s[12:13], s2 offset:0x0 scale_offset
	s_wait_kmcnt 0x0
	s_add_nc_u64 s[20:21], s[20:21], s[14:15]
	s_delay_alu instid0(SALU_CYCLE_1) | instskip(SKIP_4) | instid1(SALU_CYCLE_1)
	v_lshl_add_u64 v[16:17], v[12:13], 4, s[20:21]
	s_wait_loadcnt 0x1
	v_cmp_eq_f64_e32 vcc_lo, 0, v[4:5]
	v_cmp_eq_f64_e64 s1, 0, v[6:7]
	s_and_b32 s1, vcc_lo, s1
	s_and_not1_b32 vcc_lo, exec_lo, s1
	s_mov_b32 s1, -1
	s_cbranch_vccz .LBB65_11
; %bb.6:                                ;   in Loop: Header=BB65_4 Depth=1
	s_lshl_b64 s[20:21], s[2:3], 3
	s_wait_loadcnt 0x0
	v_cmp_eq_f64_e32 vcc_lo, 0, v[0:1]
	s_add_nc_u64 s[20:21], s[8:9], s[20:21]
	v_cmp_eq_f64_e64 s1, 0, v[2:3]
	s_load_b64 s[20:21], s[20:21], 0x0
	s_wait_kmcnt 0x0
	s_wait_xcnt 0x0
	s_add_nc_u64 s[20:21], s[20:21], s[10:11]
	s_delay_alu instid0(SALU_CYCLE_1) | instskip(SKIP_2) | instid1(SALU_CYCLE_1)
	v_lshl_add_u64 v[8:9], v[14:15], 4, s[20:21]
	flat_load_b128 v[20:23], v[8:9]
	s_and_b32 s1, vcc_lo, s1
	s_and_not1_b32 vcc_lo, exec_lo, s1
	s_mov_b32 s1, -1
	s_wait_loadcnt_dscnt 0x0
	s_wait_xcnt 0x0
	v_xor_b32_e32 v8, 0x80000000, v23
	s_delay_alu instid0(VALU_DEP_1) | instskip(NEXT) | instid1(VALU_DEP_1)
	v_cndmask_b32_e64 v23, v23, v8, s0
	v_mul_f64_e32 v[8:9], v[6:7], v[22:23]
	v_mul_f64_e32 v[10:11], v[4:5], v[22:23]
	s_delay_alu instid0(VALU_DEP_2) | instskip(NEXT) | instid1(VALU_DEP_2)
	v_fma_f64 v[8:9], v[4:5], v[20:21], -v[8:9]
	v_fmac_f64_e32 v[10:11], v[6:7], v[20:21]
	s_cbranch_vccz .LBB65_8
; %bb.7:                                ;   in Loop: Header=BB65_4 Depth=1
	flat_load_b128 v[4:7], v[16:17]
	s_mov_b32 s1, 0
	s_wait_loadcnt_dscnt 0x0
	v_mul_f64_e32 v[20:21], v[2:3], v[6:7]
	v_mul_f64_e32 v[6:7], v[0:1], v[6:7]
	s_delay_alu instid0(VALU_DEP_2) | instskip(NEXT) | instid1(VALU_DEP_2)
	v_fma_f64 v[20:21], v[0:1], v[4:5], -v[20:21]
	v_fmac_f64_e32 v[6:7], v[2:3], v[4:5]
	s_delay_alu instid0(VALU_DEP_2) | instskip(NEXT) | instid1(VALU_DEP_2)
	v_add_f64_e32 v[4:5], v[8:9], v[20:21]
	v_add_f64_e32 v[6:7], v[10:11], v[6:7]
	flat_store_b128 v[16:17], v[4:7]
.LBB65_8:                               ;   in Loop: Header=BB65_4 Depth=1
	s_and_not1_b32 vcc_lo, exec_lo, s1
	s_cbranch_vccnz .LBB65_10
; %bb.9:                                ;   in Loop: Header=BB65_4 Depth=1
	flat_store_b128 v[16:17], v[8:11]
.LBB65_10:                              ;   in Loop: Header=BB65_4 Depth=1
	s_mov_b32 s1, 0
.LBB65_11:                              ;   in Loop: Header=BB65_4 Depth=1
	s_delay_alu instid0(SALU_CYCLE_1)
	s_and_not1_b32 vcc_lo, exec_lo, s1
	s_cbranch_vccnz .LBB65_3
; %bb.12:                               ;   in Loop: Header=BB65_4 Depth=1
	s_wait_loadcnt 0x0
	v_cmp_neq_f64_e32 vcc_lo, 0, v[0:1]
	v_cmp_neq_f64_e64 s1, 0, v[2:3]
	s_wait_xcnt 0x0
	v_mov_b64_e32 v[4:5], 0
	v_mov_b64_e32 v[6:7], 0
	s_or_b32 s1, vcc_lo, s1
	s_delay_alu instid0(SALU_CYCLE_1)
	s_and_not1_b32 vcc_lo, exec_lo, s1
	s_cbranch_vccnz .LBB65_2
; %bb.13:                               ;   in Loop: Header=BB65_4 Depth=1
	flat_load_b128 v[8:11], v[16:17]
	s_wait_loadcnt_dscnt 0x0
	v_mul_f64_e32 v[4:5], v[2:3], v[10:11]
	v_mul_f64_e32 v[6:7], v[0:1], v[10:11]
	s_delay_alu instid0(VALU_DEP_2) | instskip(NEXT) | instid1(VALU_DEP_2)
	v_fma_f64 v[4:5], v[0:1], v[8:9], -v[4:5]
	v_fmac_f64_e32 v[6:7], v[2:3], v[8:9]
	s_branch .LBB65_2
.LBB65_14:
	s_endpgm
	.section	.rodata,"a",@progbits
	.p2align	6, 0x0
	.amdhsa_kernel _ZL27rocblas_geam_inplace_deviceILi16ELi16EPK19rocblas_complex_numIdEPKS3_PKPS1_Ev18rocblas_operation_iiT1_SA_T2_lllT3_llli
		.amdhsa_group_segment_fixed_size 0
		.amdhsa_private_segment_fixed_size 0
		.amdhsa_kernarg_size 100
		.amdhsa_user_sgpr_count 2
		.amdhsa_user_sgpr_dispatch_ptr 0
		.amdhsa_user_sgpr_queue_ptr 0
		.amdhsa_user_sgpr_kernarg_segment_ptr 1
		.amdhsa_user_sgpr_dispatch_id 0
		.amdhsa_user_sgpr_kernarg_preload_length 0
		.amdhsa_user_sgpr_kernarg_preload_offset 0
		.amdhsa_user_sgpr_private_segment_size 0
		.amdhsa_wavefront_size32 1
		.amdhsa_uses_dynamic_stack 0
		.amdhsa_enable_private_segment 0
		.amdhsa_system_sgpr_workgroup_id_x 1
		.amdhsa_system_sgpr_workgroup_id_y 0
		.amdhsa_system_sgpr_workgroup_id_z 1
		.amdhsa_system_sgpr_workgroup_info 0
		.amdhsa_system_vgpr_workitem_id 1
		.amdhsa_next_free_vgpr 24
		.amdhsa_next_free_sgpr 24
		.amdhsa_named_barrier_count 0
		.amdhsa_reserve_vcc 1
		.amdhsa_float_round_mode_32 0
		.amdhsa_float_round_mode_16_64 0
		.amdhsa_float_denorm_mode_32 3
		.amdhsa_float_denorm_mode_16_64 3
		.amdhsa_fp16_overflow 0
		.amdhsa_memory_ordered 1
		.amdhsa_forward_progress 1
		.amdhsa_inst_pref_size 8
		.amdhsa_round_robin_scheduling 0
		.amdhsa_exception_fp_ieee_invalid_op 0
		.amdhsa_exception_fp_denorm_src 0
		.amdhsa_exception_fp_ieee_div_zero 0
		.amdhsa_exception_fp_ieee_overflow 0
		.amdhsa_exception_fp_ieee_underflow 0
		.amdhsa_exception_fp_ieee_inexact 0
		.amdhsa_exception_int_div_zero 0
	.end_amdhsa_kernel
	.section	.text._ZL27rocblas_geam_inplace_deviceILi16ELi16EPK19rocblas_complex_numIdEPKS3_PKPS1_Ev18rocblas_operation_iiT1_SA_T2_lllT3_llli,"axG",@progbits,_ZL27rocblas_geam_inplace_deviceILi16ELi16EPK19rocblas_complex_numIdEPKS3_PKPS1_Ev18rocblas_operation_iiT1_SA_T2_lllT3_llli,comdat
.Lfunc_end65:
	.size	_ZL27rocblas_geam_inplace_deviceILi16ELi16EPK19rocblas_complex_numIdEPKS3_PKPS1_Ev18rocblas_operation_iiT1_SA_T2_lllT3_llli, .Lfunc_end65-_ZL27rocblas_geam_inplace_deviceILi16ELi16EPK19rocblas_complex_numIdEPKS3_PKPS1_Ev18rocblas_operation_iiT1_SA_T2_lllT3_llli
                                        ; -- End function
	.set _ZL27rocblas_geam_inplace_deviceILi16ELi16EPK19rocblas_complex_numIdEPKS3_PKPS1_Ev18rocblas_operation_iiT1_SA_T2_lllT3_llli.num_vgpr, 24
	.set _ZL27rocblas_geam_inplace_deviceILi16ELi16EPK19rocblas_complex_numIdEPKS3_PKPS1_Ev18rocblas_operation_iiT1_SA_T2_lllT3_llli.num_agpr, 0
	.set _ZL27rocblas_geam_inplace_deviceILi16ELi16EPK19rocblas_complex_numIdEPKS3_PKPS1_Ev18rocblas_operation_iiT1_SA_T2_lllT3_llli.numbered_sgpr, 24
	.set _ZL27rocblas_geam_inplace_deviceILi16ELi16EPK19rocblas_complex_numIdEPKS3_PKPS1_Ev18rocblas_operation_iiT1_SA_T2_lllT3_llli.num_named_barrier, 0
	.set _ZL27rocblas_geam_inplace_deviceILi16ELi16EPK19rocblas_complex_numIdEPKS3_PKPS1_Ev18rocblas_operation_iiT1_SA_T2_lllT3_llli.private_seg_size, 0
	.set _ZL27rocblas_geam_inplace_deviceILi16ELi16EPK19rocblas_complex_numIdEPKS3_PKPS1_Ev18rocblas_operation_iiT1_SA_T2_lllT3_llli.uses_vcc, 1
	.set _ZL27rocblas_geam_inplace_deviceILi16ELi16EPK19rocblas_complex_numIdEPKS3_PKPS1_Ev18rocblas_operation_iiT1_SA_T2_lllT3_llli.uses_flat_scratch, 0
	.set _ZL27rocblas_geam_inplace_deviceILi16ELi16EPK19rocblas_complex_numIdEPKS3_PKPS1_Ev18rocblas_operation_iiT1_SA_T2_lllT3_llli.has_dyn_sized_stack, 0
	.set _ZL27rocblas_geam_inplace_deviceILi16ELi16EPK19rocblas_complex_numIdEPKS3_PKPS1_Ev18rocblas_operation_iiT1_SA_T2_lllT3_llli.has_recursion, 0
	.set _ZL27rocblas_geam_inplace_deviceILi16ELi16EPK19rocblas_complex_numIdEPKS3_PKPS1_Ev18rocblas_operation_iiT1_SA_T2_lllT3_llli.has_indirect_call, 0
	.section	.AMDGPU.csdata,"",@progbits
; Kernel info:
; codeLenInByte = 980
; TotalNumSgprs: 26
; NumVgprs: 24
; ScratchSize: 0
; MemoryBound: 1
; FloatMode: 240
; IeeeMode: 1
; LDSByteSize: 0 bytes/workgroup (compile time only)
; SGPRBlocks: 0
; VGPRBlocks: 1
; NumSGPRsForWavesPerEU: 26
; NumVGPRsForWavesPerEU: 24
; NamedBarCnt: 0
; Occupancy: 16
; WaveLimiterHint : 1
; COMPUTE_PGM_RSRC2:SCRATCH_EN: 0
; COMPUTE_PGM_RSRC2:USER_SGPR: 2
; COMPUTE_PGM_RSRC2:TRAP_HANDLER: 0
; COMPUTE_PGM_RSRC2:TGID_X_EN: 1
; COMPUTE_PGM_RSRC2:TGID_Y_EN: 0
; COMPUTE_PGM_RSRC2:TGID_Z_EN: 1
; COMPUTE_PGM_RSRC2:TIDIG_COMP_CNT: 1
	.section	.text._ZL30rocblas_geam_1D_2matrix_deviceILi256E19rocblas_complex_numIdEPKPKS1_PKPS1_EvmT0_T1_llT2_lli,"axG",@progbits,_ZL30rocblas_geam_1D_2matrix_deviceILi256E19rocblas_complex_numIdEPKPKS1_PKPS1_EvmT0_T1_llT2_lli,comdat
	.globl	_ZL30rocblas_geam_1D_2matrix_deviceILi256E19rocblas_complex_numIdEPKPKS1_PKPS1_EvmT0_T1_llT2_lli ; -- Begin function _ZL30rocblas_geam_1D_2matrix_deviceILi256E19rocblas_complex_numIdEPKPKS1_PKPS1_EvmT0_T1_llT2_lli
	.p2align	8
	.type	_ZL30rocblas_geam_1D_2matrix_deviceILi256E19rocblas_complex_numIdEPKPKS1_PKPS1_EvmT0_T1_llT2_lli,@function
_ZL30rocblas_geam_1D_2matrix_deviceILi256E19rocblas_complex_numIdEPKPKS1_PKPS1_EvmT0_T1_llT2_lli: ; @_ZL30rocblas_geam_1D_2matrix_deviceILi256E19rocblas_complex_numIdEPKPKS1_PKPS1_EvmT0_T1_llT2_lli
; %bb.0:
	s_load_b32 s16, s[0:1], 0x48
	s_bfe_u32 s2, ttmp6, 0x40014
	s_lshr_b32 s3, ttmp7, 16
	s_add_co_i32 s2, s2, 1
	s_bfe_u32 s4, ttmp6, 0x40008
	s_mul_i32 s2, s3, s2
	s_getreg_b32 s17, hwreg(HW_REG_IB_STS2, 6, 4)
	s_add_co_i32 s4, s4, s2
	s_cmp_eq_u32 s17, 0
	s_cselect_b32 s2, s3, s4
	s_mov_b32 s3, 0
	s_wait_kmcnt 0x0
	s_cmp_ge_u32 s2, s16
	s_cbranch_scc1 .LBB66_7
; %bb.1:
	s_clause 0x1
	s_load_b256 s[4:11], s[0:1], 0x0
	s_load_b32 s20, s[0:1], 0x5c
	s_bfe_u32 s23, ttmp6, 0x4000c
	s_clause 0x1
	s_load_b64 s[18:19], s[0:1], 0x20
	s_load_b128 s[12:15], s[0:1], 0x30
	s_add_co_i32 s23, s23, 1
	s_wait_xcnt 0x0
	s_and_b32 s0, ttmp6, 15
	s_mul_i32 s1, ttmp9, s23
	v_mov_b32_e32 v1, 0
	s_add_co_i32 s0, s0, s1
	s_wait_kmcnt 0x0
	v_cmp_neq_f64_e64 s21, s[6:7], 0
	v_cmp_neq_f64_e64 s22, s[8:9], 0
	s_and_b32 s1, s20, 0xffff
	s_cmp_eq_u32 s17, 0
	s_cselect_b32 s0, ttmp9, s0
	s_lshl_b64 s[14:15], s[14:15], 4
	v_mad_nc_u64_u32 v[4:5], s1, s0, v[0:1]
	s_delay_alu instid0(VALU_DEP_1)
	v_cmp_gt_u64_e64 s0, s[4:5], v[4:5]
	s_lshl_b64 s[4:5], s[18:19], 4
	s_or_b32 s1, s21, s22
	s_branch .LBB66_4
.LBB66_2:                               ;   in Loop: Header=BB66_4 Depth=1
	s_load_b64 s[18:19], s[12:13], s2 offset:0x0 scale_offset
	s_wait_kmcnt 0x0
	s_add_nc_u64 s[18:19], s[18:19], s[14:15]
	s_delay_alu instid0(SALU_CYCLE_1)
	v_lshl_add_u64 v[6:7], v[4:5], 4, s[18:19]
	flat_store_b128 v[6:7], v[0:3]
.LBB66_3:                               ;   in Loop: Header=BB66_4 Depth=1
	s_wait_xcnt 0x0
	s_or_b32 exec_lo, exec_lo, s17
	s_add_co_i32 s2, s2, 0x10000
	s_delay_alu instid0(SALU_CYCLE_1)
	s_cmp_lt_u32 s2, s16
	s_cbranch_scc0 .LBB66_7
.LBB66_4:                               ; =>This Inner Loop Header: Depth=1
	s_and_saveexec_b32 s17, s0
	s_cbranch_execz .LBB66_3
; %bb.5:                                ;   in Loop: Header=BB66_4 Depth=1
	v_mov_b64_e32 v[0:1], 0
	v_mov_b64_e32 v[2:3], 0
	s_and_not1_b32 vcc_lo, exec_lo, s1
	s_cbranch_vccnz .LBB66_2
; %bb.6:                                ;   in Loop: Header=BB66_4 Depth=1
	s_lshl_b64 s[18:19], s[2:3], 3
	s_delay_alu instid0(SALU_CYCLE_1) | instskip(SKIP_4) | instid1(SALU_CYCLE_1)
	s_add_nc_u64 s[18:19], s[10:11], s[18:19]
	s_load_b64 s[18:19], s[18:19], 0x0
	s_wait_kmcnt 0x0
	s_wait_xcnt 0x0
	s_add_nc_u64 s[18:19], s[18:19], s[4:5]
	v_lshl_add_u64 v[0:1], v[4:5], 4, s[18:19]
	flat_load_b128 v[6:9], v[0:1]
	s_wait_loadcnt_dscnt 0x0
	s_wait_xcnt 0x0
	v_mul_f64_e32 v[0:1], s[8:9], v[8:9]
	v_mul_f64_e32 v[2:3], s[6:7], v[8:9]
	s_delay_alu instid0(VALU_DEP_2) | instskip(NEXT) | instid1(VALU_DEP_2)
	v_fma_f64 v[0:1], s[6:7], v[6:7], -v[0:1]
	v_fmac_f64_e32 v[2:3], s[8:9], v[6:7]
	s_branch .LBB66_2
.LBB66_7:
	s_endpgm
	.section	.rodata,"a",@progbits
	.p2align	6, 0x0
	.amdhsa_kernel _ZL30rocblas_geam_1D_2matrix_deviceILi256E19rocblas_complex_numIdEPKPKS1_PKPS1_EvmT0_T1_llT2_lli
		.amdhsa_group_segment_fixed_size 0
		.amdhsa_private_segment_fixed_size 0
		.amdhsa_kernarg_size 336
		.amdhsa_user_sgpr_count 2
		.amdhsa_user_sgpr_dispatch_ptr 0
		.amdhsa_user_sgpr_queue_ptr 0
		.amdhsa_user_sgpr_kernarg_segment_ptr 1
		.amdhsa_user_sgpr_dispatch_id 0
		.amdhsa_user_sgpr_kernarg_preload_length 0
		.amdhsa_user_sgpr_kernarg_preload_offset 0
		.amdhsa_user_sgpr_private_segment_size 0
		.amdhsa_wavefront_size32 1
		.amdhsa_uses_dynamic_stack 0
		.amdhsa_enable_private_segment 0
		.amdhsa_system_sgpr_workgroup_id_x 1
		.amdhsa_system_sgpr_workgroup_id_y 0
		.amdhsa_system_sgpr_workgroup_id_z 1
		.amdhsa_system_sgpr_workgroup_info 0
		.amdhsa_system_vgpr_workitem_id 0
		.amdhsa_next_free_vgpr 10
		.amdhsa_next_free_sgpr 24
		.amdhsa_named_barrier_count 0
		.amdhsa_reserve_vcc 1
		.amdhsa_float_round_mode_32 0
		.amdhsa_float_round_mode_16_64 0
		.amdhsa_float_denorm_mode_32 3
		.amdhsa_float_denorm_mode_16_64 3
		.amdhsa_fp16_overflow 0
		.amdhsa_memory_ordered 1
		.amdhsa_forward_progress 1
		.amdhsa_inst_pref_size 4
		.amdhsa_round_robin_scheduling 0
		.amdhsa_exception_fp_ieee_invalid_op 0
		.amdhsa_exception_fp_denorm_src 0
		.amdhsa_exception_fp_ieee_div_zero 0
		.amdhsa_exception_fp_ieee_overflow 0
		.amdhsa_exception_fp_ieee_underflow 0
		.amdhsa_exception_fp_ieee_inexact 0
		.amdhsa_exception_int_div_zero 0
	.end_amdhsa_kernel
	.section	.text._ZL30rocblas_geam_1D_2matrix_deviceILi256E19rocblas_complex_numIdEPKPKS1_PKPS1_EvmT0_T1_llT2_lli,"axG",@progbits,_ZL30rocblas_geam_1D_2matrix_deviceILi256E19rocblas_complex_numIdEPKPKS1_PKPS1_EvmT0_T1_llT2_lli,comdat
.Lfunc_end66:
	.size	_ZL30rocblas_geam_1D_2matrix_deviceILi256E19rocblas_complex_numIdEPKPKS1_PKPS1_EvmT0_T1_llT2_lli, .Lfunc_end66-_ZL30rocblas_geam_1D_2matrix_deviceILi256E19rocblas_complex_numIdEPKPKS1_PKPS1_EvmT0_T1_llT2_lli
                                        ; -- End function
	.set _ZL30rocblas_geam_1D_2matrix_deviceILi256E19rocblas_complex_numIdEPKPKS1_PKPS1_EvmT0_T1_llT2_lli.num_vgpr, 10
	.set _ZL30rocblas_geam_1D_2matrix_deviceILi256E19rocblas_complex_numIdEPKPKS1_PKPS1_EvmT0_T1_llT2_lli.num_agpr, 0
	.set _ZL30rocblas_geam_1D_2matrix_deviceILi256E19rocblas_complex_numIdEPKPKS1_PKPS1_EvmT0_T1_llT2_lli.numbered_sgpr, 24
	.set _ZL30rocblas_geam_1D_2matrix_deviceILi256E19rocblas_complex_numIdEPKPKS1_PKPS1_EvmT0_T1_llT2_lli.num_named_barrier, 0
	.set _ZL30rocblas_geam_1D_2matrix_deviceILi256E19rocblas_complex_numIdEPKPKS1_PKPS1_EvmT0_T1_llT2_lli.private_seg_size, 0
	.set _ZL30rocblas_geam_1D_2matrix_deviceILi256E19rocblas_complex_numIdEPKPKS1_PKPS1_EvmT0_T1_llT2_lli.uses_vcc, 1
	.set _ZL30rocblas_geam_1D_2matrix_deviceILi256E19rocblas_complex_numIdEPKPKS1_PKPS1_EvmT0_T1_llT2_lli.uses_flat_scratch, 0
	.set _ZL30rocblas_geam_1D_2matrix_deviceILi256E19rocblas_complex_numIdEPKPKS1_PKPS1_EvmT0_T1_llT2_lli.has_dyn_sized_stack, 0
	.set _ZL30rocblas_geam_1D_2matrix_deviceILi256E19rocblas_complex_numIdEPKPKS1_PKPS1_EvmT0_T1_llT2_lli.has_recursion, 0
	.set _ZL30rocblas_geam_1D_2matrix_deviceILi256E19rocblas_complex_numIdEPKPKS1_PKPS1_EvmT0_T1_llT2_lli.has_indirect_call, 0
	.section	.AMDGPU.csdata,"",@progbits
; Kernel info:
; codeLenInByte = 396
; TotalNumSgprs: 26
; NumVgprs: 10
; ScratchSize: 0
; MemoryBound: 0
; FloatMode: 240
; IeeeMode: 1
; LDSByteSize: 0 bytes/workgroup (compile time only)
; SGPRBlocks: 0
; VGPRBlocks: 0
; NumSGPRsForWavesPerEU: 26
; NumVGPRsForWavesPerEU: 10
; NamedBarCnt: 0
; Occupancy: 16
; WaveLimiterHint : 1
; COMPUTE_PGM_RSRC2:SCRATCH_EN: 0
; COMPUTE_PGM_RSRC2:USER_SGPR: 2
; COMPUTE_PGM_RSRC2:TRAP_HANDLER: 0
; COMPUTE_PGM_RSRC2:TGID_X_EN: 1
; COMPUTE_PGM_RSRC2:TGID_Y_EN: 0
; COMPUTE_PGM_RSRC2:TGID_Z_EN: 1
; COMPUTE_PGM_RSRC2:TIDIG_COMP_CNT: 0
	.section	.text._ZL27rocblas_geam_2matrix_deviceILi16ELi16E19rocblas_complex_numIdEPKPKS1_PKPS1_Ev18rocblas_operation_iiT1_T2_lllT3_llli,"axG",@progbits,_ZL27rocblas_geam_2matrix_deviceILi16ELi16E19rocblas_complex_numIdEPKPKS1_PKPS1_Ev18rocblas_operation_iiT1_T2_lllT3_llli,comdat
	.globl	_ZL27rocblas_geam_2matrix_deviceILi16ELi16E19rocblas_complex_numIdEPKPKS1_PKPS1_Ev18rocblas_operation_iiT1_T2_lllT3_llli ; -- Begin function _ZL27rocblas_geam_2matrix_deviceILi16ELi16E19rocblas_complex_numIdEPKPKS1_PKPS1_Ev18rocblas_operation_iiT1_T2_lllT3_llli
	.p2align	8
	.type	_ZL27rocblas_geam_2matrix_deviceILi16ELi16E19rocblas_complex_numIdEPKPKS1_PKPS1_Ev18rocblas_operation_iiT1_T2_lllT3_llli,@function
_ZL27rocblas_geam_2matrix_deviceILi16ELi16E19rocblas_complex_numIdEPKPKS1_PKPS1_Ev18rocblas_operation_iiT1_T2_lllT3_llli: ; @_ZL27rocblas_geam_2matrix_deviceILi16ELi16E19rocblas_complex_numIdEPKPKS1_PKPS1_Ev18rocblas_operation_iiT1_T2_lllT3_llli
; %bb.0:
	s_load_b32 s19, s[0:1], 0x60
	s_bfe_u32 s2, ttmp6, 0x40014
	s_lshr_b32 s3, ttmp7, 16
	s_add_co_i32 s2, s2, 1
	s_bfe_u32 s5, ttmp6, 0x40008
	s_mul_i32 s2, s3, s2
	s_getreg_b32 s4, hwreg(HW_REG_IB_STS2, 6, 4)
	s_add_co_i32 s5, s5, s2
	s_cmp_eq_u32 s4, 0
	s_cselect_b32 s2, s3, s5
	s_mov_b32 s3, 0
	s_wait_kmcnt 0x0
	s_cmp_ge_u32 s2, s19
	s_cbranch_scc1 .LBB67_7
; %bb.1:
	s_clause 0x1
	s_load_b96 s[16:18], s[0:1], 0x0
	s_load_b64 s[20:21], s[0:1], 0x30
	s_bfe_u32 s8, ttmp6, 0x4000c
	s_and_b32 s7, ttmp6, 15
	s_add_co_i32 s8, s8, 1
	v_and_b32_e32 v2, 0x3ff, v0
	s_mul_i32 s8, ttmp9, s8
	s_delay_alu instid0(SALU_CYCLE_1) | instskip(SKIP_2) | instid1(SALU_CYCLE_1)
	s_add_co_i32 s7, s7, s8
	s_wait_kmcnt 0x0
	s_add_co_i32 s5, s17, -1
	s_ashr_i32 s6, s5, 31
	s_delay_alu instid0(SALU_CYCLE_1) | instskip(NEXT) | instid1(SALU_CYCLE_1)
	s_lshr_b32 s6, s6, 28
	s_add_co_i32 s5, s5, s6
	s_delay_alu instid0(SALU_CYCLE_1) | instskip(NEXT) | instid1(SALU_CYCLE_1)
	s_ashr_i32 s5, s5, 4
	s_add_co_i32 s12, s5, 1
	s_not_b32 s5, s5
	s_cvt_f32_u32 s6, s12
	s_delay_alu instid0(SALU_CYCLE_3) | instskip(SKIP_1) | instid1(TRANS32_DEP_1)
	v_rcp_iflag_f32_e32 v1, s6
	v_nop
	v_readfirstlane_b32 s6, v1
	v_bfe_u32 v1, v0, 10, 10
	s_mul_f32 s6, s6, 0x4f7ffffe
	s_delay_alu instid0(SALU_CYCLE_3) | instskip(NEXT) | instid1(SALU_CYCLE_3)
	s_cvt_u32_f32 s6, s6
	s_mul_i32 s5, s5, s6
	s_delay_alu instid0(SALU_CYCLE_1) | instskip(NEXT) | instid1(SALU_CYCLE_1)
	s_mul_hi_u32 s5, s6, s5
	s_add_co_i32 s6, s6, s5
	s_cmp_eq_u32 s4, 0
	s_cselect_b32 s13, ttmp9, s7
	s_delay_alu instid0(SALU_CYCLE_1) | instskip(SKIP_4) | instid1(SALU_CYCLE_1)
	s_mul_hi_u32 s14, s13, s6
	s_load_b256 s[4:11], s[0:1], 0x10
	s_mul_i32 s15, s14, s12
	s_add_co_i32 s22, s14, 1
	s_sub_co_i32 s15, s13, s15
	s_sub_co_i32 s23, s15, s12
	s_cmp_ge_u32 s15, s12
	s_cselect_b32 s14, s22, s14
	s_cselect_b32 s15, s23, s15
	s_add_co_i32 s22, s14, 1
	s_cmp_ge_u32 s15, s12
	s_cselect_b32 s14, s22, s14
	s_load_b64 s[22:23], s[0:1], 0x50
	s_mul_i32 s12, s14, s12
	v_lshl_add_u32 v0, s14, 4, v1
	s_sub_co_i32 s12, s13, s12
	s_delay_alu instid0(SALU_CYCLE_1)
	v_lshl_add_u32 v4, s12, 4, v2
	s_wait_kmcnt 0x0
	v_cmp_neq_f64_e64 s24, s[4:5], 0
	v_cmp_neq_f64_e64 s25, s[6:7], 0
	s_load_b128 s[12:15], s[0:1], 0x40
	v_cmp_gt_i32_e32 vcc_lo, s18, v0
	s_wait_xcnt 0x0
	v_cmp_gt_i32_e64 s0, s17, v4
	v_ashrrev_i32_e32 v1, 31, v0
	s_and_b32 s17, s0, vcc_lo
	s_delay_alu instid0(VALU_DEP_1) | instskip(SKIP_1) | instid1(VALU_DEP_2)
	v_mad_nc_u64_u32 v[2:3], s20, v4, v[0:1]
	v_mul_u64_e32 v[6:7], s[22:23], v[0:1]
	v_mad_u32 v3, s21, v4, v3
	s_or_b32 s1, s24, s25
	s_cmp_eq_u32 s16, 0x6f
	s_cselect_b32 vcc_lo, -1, 0
	v_ashrrev_i32_e32 v5, 31, v4
	s_cmp_eq_u32 s16, 0x71
	s_cselect_b32 s0, -1, 0
	s_lshl_b64 s[10:11], s[10:11], 4
	s_delay_alu instid0(VALU_DEP_1) | instskip(SKIP_2) | instid1(VALU_DEP_1)
	v_mad_nc_u64_u32 v[8:9], s20, v0, v[4:5]
	s_wait_kmcnt 0x0
	s_lshl_b64 s[14:15], s[14:15], 4
	v_mad_u32 v9, s21, v0, v9
	v_mad_u32 v0, s20, v5, v3
	s_delay_alu instid0(VALU_DEP_3) | instskip(NEXT) | instid1(VALU_DEP_3)
	v_cndmask_b32_e32 v8, v2, v8, vcc_lo
	v_mad_u32 v1, s20, v1, v9
	s_delay_alu instid0(VALU_DEP_1)
	v_cndmask_b32_e32 v9, v0, v1, vcc_lo
	s_branch .LBB67_4
.LBB67_2:                               ;   in Loop: Header=BB67_4 Depth=1
	s_load_b64 s[20:21], s[12:13], s2 offset:0x0 scale_offset
	s_wait_kmcnt 0x0
	s_add_nc_u64 s[20:21], s[20:21], s[14:15]
	s_delay_alu instid0(SALU_CYCLE_1) | instskip(NEXT) | instid1(VALU_DEP_1)
	v_lshl_add_u64 v[10:11], v[6:7], 4, s[20:21]
	v_lshl_add_u64 v[10:11], v[4:5], 4, v[10:11]
	flat_store_b128 v[10:11], v[0:3]
.LBB67_3:                               ;   in Loop: Header=BB67_4 Depth=1
	s_wait_xcnt 0x0
	s_or_b32 exec_lo, exec_lo, s16
	s_add_co_i32 s2, s2, 0x10000
	s_delay_alu instid0(SALU_CYCLE_1)
	s_cmp_lt_u32 s2, s19
	s_cbranch_scc0 .LBB67_7
.LBB67_4:                               ; =>This Inner Loop Header: Depth=1
	s_and_saveexec_b32 s16, s17
	s_cbranch_execz .LBB67_3
; %bb.5:                                ;   in Loop: Header=BB67_4 Depth=1
	v_mov_b64_e32 v[0:1], 0
	v_mov_b64_e32 v[2:3], 0
	s_and_not1_b32 vcc_lo, exec_lo, s1
	s_cbranch_vccnz .LBB67_2
; %bb.6:                                ;   in Loop: Header=BB67_4 Depth=1
	s_lshl_b64 s[20:21], s[2:3], 3
	s_delay_alu instid0(SALU_CYCLE_1) | instskip(SKIP_4) | instid1(SALU_CYCLE_1)
	s_add_nc_u64 s[20:21], s[8:9], s[20:21]
	s_load_b64 s[20:21], s[20:21], 0x0
	s_wait_kmcnt 0x0
	s_wait_xcnt 0x0
	s_add_nc_u64 s[20:21], s[20:21], s[10:11]
	v_lshl_add_u64 v[0:1], v[8:9], 4, s[20:21]
	flat_load_b128 v[10:13], v[0:1]
	s_wait_loadcnt_dscnt 0x0
	s_wait_xcnt 0x0
	v_xor_b32_e32 v0, 0x80000000, v13
	s_delay_alu instid0(VALU_DEP_1) | instskip(NEXT) | instid1(VALU_DEP_1)
	v_cndmask_b32_e64 v13, v13, v0, s0
	v_mul_f64_e32 v[0:1], s[6:7], v[12:13]
	s_delay_alu instid0(VALU_DEP_1) | instskip(SKIP_1) | instid1(VALU_DEP_1)
	v_fma_f64 v[0:1], s[4:5], v[10:11], -v[0:1]
	v_mul_f64_e32 v[2:3], s[4:5], v[12:13]
	v_fmac_f64_e32 v[2:3], s[6:7], v[10:11]
	s_branch .LBB67_2
.LBB67_7:
	s_endpgm
	.section	.rodata,"a",@progbits
	.p2align	6, 0x0
	.amdhsa_kernel _ZL27rocblas_geam_2matrix_deviceILi16ELi16E19rocblas_complex_numIdEPKPKS1_PKPS1_Ev18rocblas_operation_iiT1_T2_lllT3_llli
		.amdhsa_group_segment_fixed_size 0
		.amdhsa_private_segment_fixed_size 0
		.amdhsa_kernarg_size 100
		.amdhsa_user_sgpr_count 2
		.amdhsa_user_sgpr_dispatch_ptr 0
		.amdhsa_user_sgpr_queue_ptr 0
		.amdhsa_user_sgpr_kernarg_segment_ptr 1
		.amdhsa_user_sgpr_dispatch_id 0
		.amdhsa_user_sgpr_kernarg_preload_length 0
		.amdhsa_user_sgpr_kernarg_preload_offset 0
		.amdhsa_user_sgpr_private_segment_size 0
		.amdhsa_wavefront_size32 1
		.amdhsa_uses_dynamic_stack 0
		.amdhsa_enable_private_segment 0
		.amdhsa_system_sgpr_workgroup_id_x 1
		.amdhsa_system_sgpr_workgroup_id_y 0
		.amdhsa_system_sgpr_workgroup_id_z 1
		.amdhsa_system_sgpr_workgroup_info 0
		.amdhsa_system_vgpr_workitem_id 1
		.amdhsa_next_free_vgpr 14
		.amdhsa_next_free_sgpr 26
		.amdhsa_named_barrier_count 0
		.amdhsa_reserve_vcc 1
		.amdhsa_float_round_mode_32 0
		.amdhsa_float_round_mode_16_64 0
		.amdhsa_float_denorm_mode_32 3
		.amdhsa_float_denorm_mode_16_64 3
		.amdhsa_fp16_overflow 0
		.amdhsa_memory_ordered 1
		.amdhsa_forward_progress 1
		.amdhsa_inst_pref_size 6
		.amdhsa_round_robin_scheduling 0
		.amdhsa_exception_fp_ieee_invalid_op 0
		.amdhsa_exception_fp_denorm_src 0
		.amdhsa_exception_fp_ieee_div_zero 0
		.amdhsa_exception_fp_ieee_overflow 0
		.amdhsa_exception_fp_ieee_underflow 0
		.amdhsa_exception_fp_ieee_inexact 0
		.amdhsa_exception_int_div_zero 0
	.end_amdhsa_kernel
	.section	.text._ZL27rocblas_geam_2matrix_deviceILi16ELi16E19rocblas_complex_numIdEPKPKS1_PKPS1_Ev18rocblas_operation_iiT1_T2_lllT3_llli,"axG",@progbits,_ZL27rocblas_geam_2matrix_deviceILi16ELi16E19rocblas_complex_numIdEPKPKS1_PKPS1_Ev18rocblas_operation_iiT1_T2_lllT3_llli,comdat
.Lfunc_end67:
	.size	_ZL27rocblas_geam_2matrix_deviceILi16ELi16E19rocblas_complex_numIdEPKPKS1_PKPS1_Ev18rocblas_operation_iiT1_T2_lllT3_llli, .Lfunc_end67-_ZL27rocblas_geam_2matrix_deviceILi16ELi16E19rocblas_complex_numIdEPKPKS1_PKPS1_Ev18rocblas_operation_iiT1_T2_lllT3_llli
                                        ; -- End function
	.set _ZL27rocblas_geam_2matrix_deviceILi16ELi16E19rocblas_complex_numIdEPKPKS1_PKPS1_Ev18rocblas_operation_iiT1_T2_lllT3_llli.num_vgpr, 14
	.set _ZL27rocblas_geam_2matrix_deviceILi16ELi16E19rocblas_complex_numIdEPKPKS1_PKPS1_Ev18rocblas_operation_iiT1_T2_lllT3_llli.num_agpr, 0
	.set _ZL27rocblas_geam_2matrix_deviceILi16ELi16E19rocblas_complex_numIdEPKPKS1_PKPS1_Ev18rocblas_operation_iiT1_T2_lllT3_llli.numbered_sgpr, 26
	.set _ZL27rocblas_geam_2matrix_deviceILi16ELi16E19rocblas_complex_numIdEPKPKS1_PKPS1_Ev18rocblas_operation_iiT1_T2_lllT3_llli.num_named_barrier, 0
	.set _ZL27rocblas_geam_2matrix_deviceILi16ELi16E19rocblas_complex_numIdEPKPKS1_PKPS1_Ev18rocblas_operation_iiT1_T2_lllT3_llli.private_seg_size, 0
	.set _ZL27rocblas_geam_2matrix_deviceILi16ELi16E19rocblas_complex_numIdEPKPKS1_PKPS1_Ev18rocblas_operation_iiT1_T2_lllT3_llli.uses_vcc, 1
	.set _ZL27rocblas_geam_2matrix_deviceILi16ELi16E19rocblas_complex_numIdEPKPKS1_PKPS1_Ev18rocblas_operation_iiT1_T2_lllT3_llli.uses_flat_scratch, 0
	.set _ZL27rocblas_geam_2matrix_deviceILi16ELi16E19rocblas_complex_numIdEPKPKS1_PKPS1_Ev18rocblas_operation_iiT1_T2_lllT3_llli.has_dyn_sized_stack, 0
	.set _ZL27rocblas_geam_2matrix_deviceILi16ELi16E19rocblas_complex_numIdEPKPKS1_PKPS1_Ev18rocblas_operation_iiT1_T2_lllT3_llli.has_recursion, 0
	.set _ZL27rocblas_geam_2matrix_deviceILi16ELi16E19rocblas_complex_numIdEPKPKS1_PKPS1_Ev18rocblas_operation_iiT1_T2_lllT3_llli.has_indirect_call, 0
	.section	.AMDGPU.csdata,"",@progbits
; Kernel info:
; codeLenInByte = 712
; TotalNumSgprs: 28
; NumVgprs: 14
; ScratchSize: 0
; MemoryBound: 0
; FloatMode: 240
; IeeeMode: 1
; LDSByteSize: 0 bytes/workgroup (compile time only)
; SGPRBlocks: 0
; VGPRBlocks: 0
; NumSGPRsForWavesPerEU: 28
; NumVGPRsForWavesPerEU: 14
; NamedBarCnt: 0
; Occupancy: 16
; WaveLimiterHint : 1
; COMPUTE_PGM_RSRC2:SCRATCH_EN: 0
; COMPUTE_PGM_RSRC2:USER_SGPR: 2
; COMPUTE_PGM_RSRC2:TRAP_HANDLER: 0
; COMPUTE_PGM_RSRC2:TGID_X_EN: 1
; COMPUTE_PGM_RSRC2:TGID_Y_EN: 0
; COMPUTE_PGM_RSRC2:TGID_Z_EN: 1
; COMPUTE_PGM_RSRC2:TIDIG_COMP_CNT: 1
	.section	.text._ZL22rocblas_geam_1D_deviceILi256E19rocblas_complex_numIdEPKPKS1_PKPS1_EvmT0_T1_llS9_SA_llT2_lli,"axG",@progbits,_ZL22rocblas_geam_1D_deviceILi256E19rocblas_complex_numIdEPKPKS1_PKPS1_EvmT0_T1_llS9_SA_llT2_lli,comdat
	.globl	_ZL22rocblas_geam_1D_deviceILi256E19rocblas_complex_numIdEPKPKS1_PKPS1_EvmT0_T1_llS9_SA_llT2_lli ; -- Begin function _ZL22rocblas_geam_1D_deviceILi256E19rocblas_complex_numIdEPKPKS1_PKPS1_EvmT0_T1_llS9_SA_llT2_lli
	.p2align	8
	.type	_ZL22rocblas_geam_1D_deviceILi256E19rocblas_complex_numIdEPKPKS1_PKPS1_EvmT0_T1_llS9_SA_llT2_lli,@function
_ZL22rocblas_geam_1D_deviceILi256E19rocblas_complex_numIdEPKPKS1_PKPS1_EvmT0_T1_llS9_SA_llT2_lli: ; @_ZL22rocblas_geam_1D_deviceILi256E19rocblas_complex_numIdEPKPKS1_PKPS1_EvmT0_T1_llS9_SA_llT2_lli
; %bb.0:
	s_load_b32 s26, s[0:1], 0x70
	s_bfe_u32 s2, ttmp6, 0x40014
	s_lshr_b32 s3, ttmp7, 16
	s_add_co_i32 s2, s2, 1
	s_bfe_u32 s4, ttmp6, 0x40008
	s_mul_i32 s2, s3, s2
	s_getreg_b32 s20, hwreg(HW_REG_IB_STS2, 6, 4)
	s_add_co_i32 s4, s4, s2
	s_cmp_eq_u32 s20, 0
	s_cselect_b32 s2, s3, s4
	s_mov_b32 s3, 0
	s_wait_kmcnt 0x0
	s_cmp_ge_u32 s2, s26
	s_cbranch_scc1 .LBB68_13
; %bb.1:
	s_clause 0x2
	s_load_b256 s[4:11], s[0:1], 0x0
	s_load_b256 s[12:19], s[0:1], 0x30
	s_load_b32 s21, s[0:1], 0x84
	s_bfe_u32 s22, ttmp6, 0x4000c
	s_and_b32 s23, ttmp6, 15
	s_add_co_i32 s22, s22, 1
	v_mov_b32_e32 v1, 0
	s_mul_i32 s22, ttmp9, s22
	s_load_b64 s[24:25], s[0:1], 0x20
	s_add_co_i32 s23, s23, s22
	s_wait_kmcnt 0x0
	v_cmp_neq_f64_e64 s27, s[6:7], 0
	v_cmp_neq_f64_e64 s28, s[8:9], 0
	;; [unrolled: 1-line block ×4, first 2 shown]
	s_and_b32 s31, s21, 0xffff
	s_cmp_eq_u32 s20, 0
	s_cselect_b32 s33, ttmp9, s23
	s_load_b128 s[20:23], s[0:1], 0x58
	v_mad_nc_u64_u32 v[4:5], s31, s33, v[0:1]
	s_lshl_b64 s[18:19], s[18:19], 4
	s_wait_xcnt 0x0
	s_delay_alu instid0(VALU_DEP_1)
	v_cmp_gt_u64_e64 s0, s[4:5], v[4:5]
	s_wait_kmcnt 0x0
	s_lshl_b64 s[22:23], s[22:23], 4
	s_or_b32 s1, s27, s28
	s_or_b32 s4, s29, s30
	v_cndmask_b32_e64 v10, 0, 1, s1
	v_cndmask_b32_e64 v11, 0, 1, s4
	s_or_b32 s1, s4, s1
	s_lshl_b64 s[4:5], s[24:25], 4
	s_branch .LBB68_5
.LBB68_2:                               ;   in Loop: Header=BB68_5 Depth=1
	s_delay_alu instid0(VALU_DEP_1) | instskip(NEXT) | instid1(VALU_DEP_2)
	v_add_f64_e32 v[0:1], v[0:1], v[8:9]
	v_add_f64_e32 v[2:3], v[6:7], v[2:3]
.LBB68_3:                               ;   in Loop: Header=BB68_5 Depth=1
	s_load_b64 s[24:25], s[20:21], s2 offset:0x0 scale_offset
	s_wait_kmcnt 0x0
	s_add_nc_u64 s[24:25], s[24:25], s[22:23]
	s_delay_alu instid0(SALU_CYCLE_1)
	v_lshl_add_u64 v[6:7], v[4:5], 4, s[24:25]
	flat_store_b128 v[6:7], v[0:3]
.LBB68_4:                               ;   in Loop: Header=BB68_5 Depth=1
	s_wait_xcnt 0x0
	s_or_b32 exec_lo, exec_lo, s27
	s_add_co_i32 s2, s2, 0x10000
	s_delay_alu instid0(SALU_CYCLE_1)
	s_cmp_lt_u32 s2, s26
	s_cbranch_scc0 .LBB68_13
.LBB68_5:                               ; =>This Inner Loop Header: Depth=1
	s_and_saveexec_b32 s27, s0
	s_cbranch_execz .LBB68_4
; %bb.6:                                ;   in Loop: Header=BB68_5 Depth=1
	v_mov_b64_e32 v[2:3], 0
	v_mov_b64_e32 v[0:1], 0
	s_and_not1_b32 vcc_lo, exec_lo, s1
	s_cbranch_vccnz .LBB68_3
; %bb.7:                                ;   in Loop: Header=BB68_5 Depth=1
	v_cmp_ne_u32_e32 vcc_lo, 1, v10
	s_mov_b64 s[24:25], 0
	s_cbranch_vccnz .LBB68_9
; %bb.8:                                ;   in Loop: Header=BB68_5 Depth=1
	s_lshl_b64 s[24:25], s[2:3], 3
	s_delay_alu instid0(SALU_CYCLE_1)
	s_add_nc_u64 s[24:25], s[10:11], s[24:25]
	s_load_b64 s[24:25], s[24:25], 0x0
	s_wait_kmcnt 0x0
	s_wait_xcnt 0x0
	s_add_nc_u64 s[24:25], s[24:25], s[4:5]
.LBB68_9:                               ;   in Loop: Header=BB68_5 Depth=1
	v_mov_b64_e32 v[2:3], 0
	v_cmp_ne_u32_e32 vcc_lo, 1, v11
	v_mov_b64_e32 v[6:7], 0
	v_mov_b64_e32 v[0:1], 0
	s_cbranch_vccnz .LBB68_11
; %bb.10:                               ;   in Loop: Header=BB68_5 Depth=1
	s_lshl_b64 s[28:29], s[2:3], 3
	s_delay_alu instid0(SALU_CYCLE_1) | instskip(SKIP_4) | instid1(SALU_CYCLE_1)
	s_add_nc_u64 s[28:29], s[16:17], s[28:29]
	s_load_b64 s[28:29], s[28:29], 0x0
	s_wait_kmcnt 0x0
	s_wait_xcnt 0x0
	s_add_nc_u64 s[28:29], s[28:29], s[18:19]
	v_lshl_add_u64 v[0:1], v[4:5], 4, s[28:29]
	flat_load_b128 v[12:15], v[0:1]
	s_wait_loadcnt_dscnt 0x0
	s_wait_xcnt 0x0
	v_mul_f64_e32 v[0:1], s[14:15], v[14:15]
	v_mul_f64_e32 v[6:7], s[12:13], v[14:15]
	s_delay_alu instid0(VALU_DEP_2) | instskip(NEXT) | instid1(VALU_DEP_2)
	v_fma_f64 v[0:1], s[12:13], v[12:13], -v[0:1]
	v_fmac_f64_e32 v[6:7], s[14:15], v[12:13]
.LBB68_11:                              ;   in Loop: Header=BB68_5 Depth=1
	v_cmp_ne_u32_e32 vcc_lo, 1, v10
	v_mov_b64_e32 v[8:9], 0
	s_cbranch_vccnz .LBB68_2
; %bb.12:                               ;   in Loop: Header=BB68_5 Depth=1
	v_lshl_add_u64 v[2:3], v[4:5], 4, s[24:25]
	flat_load_b128 v[12:15], v[2:3]
	s_wait_loadcnt_dscnt 0x0
	v_mul_f64_e32 v[8:9], s[8:9], v[14:15]
	s_wait_xcnt 0x0
	v_mul_f64_e32 v[2:3], s[6:7], v[14:15]
	s_delay_alu instid0(VALU_DEP_2) | instskip(NEXT) | instid1(VALU_DEP_2)
	v_fma_f64 v[8:9], s[6:7], v[12:13], -v[8:9]
	v_fmac_f64_e32 v[2:3], s[8:9], v[12:13]
	s_branch .LBB68_2
.LBB68_13:
	s_endpgm
	.section	.rodata,"a",@progbits
	.p2align	6, 0x0
	.amdhsa_kernel _ZL22rocblas_geam_1D_deviceILi256E19rocblas_complex_numIdEPKPKS1_PKPS1_EvmT0_T1_llS9_SA_llT2_lli
		.amdhsa_group_segment_fixed_size 0
		.amdhsa_private_segment_fixed_size 0
		.amdhsa_kernarg_size 376
		.amdhsa_user_sgpr_count 2
		.amdhsa_user_sgpr_dispatch_ptr 0
		.amdhsa_user_sgpr_queue_ptr 0
		.amdhsa_user_sgpr_kernarg_segment_ptr 1
		.amdhsa_user_sgpr_dispatch_id 0
		.amdhsa_user_sgpr_kernarg_preload_length 0
		.amdhsa_user_sgpr_kernarg_preload_offset 0
		.amdhsa_user_sgpr_private_segment_size 0
		.amdhsa_wavefront_size32 1
		.amdhsa_uses_dynamic_stack 0
		.amdhsa_enable_private_segment 0
		.amdhsa_system_sgpr_workgroup_id_x 1
		.amdhsa_system_sgpr_workgroup_id_y 0
		.amdhsa_system_sgpr_workgroup_id_z 1
		.amdhsa_system_sgpr_workgroup_info 0
		.amdhsa_system_vgpr_workitem_id 0
		.amdhsa_next_free_vgpr 16
		.amdhsa_next_free_sgpr 34
		.amdhsa_named_barrier_count 0
		.amdhsa_reserve_vcc 1
		.amdhsa_float_round_mode_32 0
		.amdhsa_float_round_mode_16_64 0
		.amdhsa_float_denorm_mode_32 3
		.amdhsa_float_denorm_mode_16_64 3
		.amdhsa_fp16_overflow 0
		.amdhsa_memory_ordered 1
		.amdhsa_forward_progress 1
		.amdhsa_inst_pref_size 5
		.amdhsa_round_robin_scheduling 0
		.amdhsa_exception_fp_ieee_invalid_op 0
		.amdhsa_exception_fp_denorm_src 0
		.amdhsa_exception_fp_ieee_div_zero 0
		.amdhsa_exception_fp_ieee_overflow 0
		.amdhsa_exception_fp_ieee_underflow 0
		.amdhsa_exception_fp_ieee_inexact 0
		.amdhsa_exception_int_div_zero 0
	.end_amdhsa_kernel
	.section	.text._ZL22rocblas_geam_1D_deviceILi256E19rocblas_complex_numIdEPKPKS1_PKPS1_EvmT0_T1_llS9_SA_llT2_lli,"axG",@progbits,_ZL22rocblas_geam_1D_deviceILi256E19rocblas_complex_numIdEPKPKS1_PKPS1_EvmT0_T1_llS9_SA_llT2_lli,comdat
.Lfunc_end68:
	.size	_ZL22rocblas_geam_1D_deviceILi256E19rocblas_complex_numIdEPKPKS1_PKPS1_EvmT0_T1_llS9_SA_llT2_lli, .Lfunc_end68-_ZL22rocblas_geam_1D_deviceILi256E19rocblas_complex_numIdEPKPKS1_PKPS1_EvmT0_T1_llS9_SA_llT2_lli
                                        ; -- End function
	.set _ZL22rocblas_geam_1D_deviceILi256E19rocblas_complex_numIdEPKPKS1_PKPS1_EvmT0_T1_llS9_SA_llT2_lli.num_vgpr, 16
	.set _ZL22rocblas_geam_1D_deviceILi256E19rocblas_complex_numIdEPKPKS1_PKPS1_EvmT0_T1_llS9_SA_llT2_lli.num_agpr, 0
	.set _ZL22rocblas_geam_1D_deviceILi256E19rocblas_complex_numIdEPKPKS1_PKPS1_EvmT0_T1_llS9_SA_llT2_lli.numbered_sgpr, 34
	.set _ZL22rocblas_geam_1D_deviceILi256E19rocblas_complex_numIdEPKPKS1_PKPS1_EvmT0_T1_llS9_SA_llT2_lli.num_named_barrier, 0
	.set _ZL22rocblas_geam_1D_deviceILi256E19rocblas_complex_numIdEPKPKS1_PKPS1_EvmT0_T1_llS9_SA_llT2_lli.private_seg_size, 0
	.set _ZL22rocblas_geam_1D_deviceILi256E19rocblas_complex_numIdEPKPKS1_PKPS1_EvmT0_T1_llS9_SA_llT2_lli.uses_vcc, 1
	.set _ZL22rocblas_geam_1D_deviceILi256E19rocblas_complex_numIdEPKPKS1_PKPS1_EvmT0_T1_llS9_SA_llT2_lli.uses_flat_scratch, 0
	.set _ZL22rocblas_geam_1D_deviceILi256E19rocblas_complex_numIdEPKPKS1_PKPS1_EvmT0_T1_llS9_SA_llT2_lli.has_dyn_sized_stack, 0
	.set _ZL22rocblas_geam_1D_deviceILi256E19rocblas_complex_numIdEPKPKS1_PKPS1_EvmT0_T1_llS9_SA_llT2_lli.has_recursion, 0
	.set _ZL22rocblas_geam_1D_deviceILi256E19rocblas_complex_numIdEPKPKS1_PKPS1_EvmT0_T1_llS9_SA_llT2_lli.has_indirect_call, 0
	.section	.AMDGPU.csdata,"",@progbits
; Kernel info:
; codeLenInByte = 588
; TotalNumSgprs: 36
; NumVgprs: 16
; ScratchSize: 0
; MemoryBound: 0
; FloatMode: 240
; IeeeMode: 1
; LDSByteSize: 0 bytes/workgroup (compile time only)
; SGPRBlocks: 0
; VGPRBlocks: 0
; NumSGPRsForWavesPerEU: 36
; NumVGPRsForWavesPerEU: 16
; NamedBarCnt: 0
; Occupancy: 16
; WaveLimiterHint : 1
; COMPUTE_PGM_RSRC2:SCRATCH_EN: 0
; COMPUTE_PGM_RSRC2:USER_SGPR: 2
; COMPUTE_PGM_RSRC2:TRAP_HANDLER: 0
; COMPUTE_PGM_RSRC2:TGID_X_EN: 1
; COMPUTE_PGM_RSRC2:TGID_Y_EN: 0
; COMPUTE_PGM_RSRC2:TGID_Z_EN: 1
; COMPUTE_PGM_RSRC2:TIDIG_COMP_CNT: 0
	.section	.text._ZL22rocblas_geam_1D_deviceILi256EPK19rocblas_complex_numIdEPKS3_PKPS1_EvmT0_T1_llS9_SA_llT2_lli,"axG",@progbits,_ZL22rocblas_geam_1D_deviceILi256EPK19rocblas_complex_numIdEPKS3_PKPS1_EvmT0_T1_llS9_SA_llT2_lli,comdat
	.globl	_ZL22rocblas_geam_1D_deviceILi256EPK19rocblas_complex_numIdEPKS3_PKPS1_EvmT0_T1_llS9_SA_llT2_lli ; -- Begin function _ZL22rocblas_geam_1D_deviceILi256EPK19rocblas_complex_numIdEPKS3_PKPS1_EvmT0_T1_llS9_SA_llT2_lli
	.p2align	8
	.type	_ZL22rocblas_geam_1D_deviceILi256EPK19rocblas_complex_numIdEPKS3_PKPS1_EvmT0_T1_llS9_SA_llT2_lli,@function
_ZL22rocblas_geam_1D_deviceILi256EPK19rocblas_complex_numIdEPKS3_PKPS1_EvmT0_T1_llS9_SA_llT2_lli: ; @_ZL22rocblas_geam_1D_deviceILi256EPK19rocblas_complex_numIdEPKS3_PKPS1_EvmT0_T1_llS9_SA_llT2_lli
; %bb.0:
	s_load_b32 s22, s[0:1], 0x60
	s_bfe_u32 s2, ttmp6, 0x40014
	s_lshr_b32 s3, ttmp7, 16
	s_add_co_i32 s2, s2, 1
	s_bfe_u32 s5, ttmp6, 0x40008
	s_mul_i32 s4, s3, s2
	s_getreg_b32 s2, hwreg(HW_REG_IB_STS2, 6, 4)
	s_add_co_i32 s5, s5, s4
	s_cmp_eq_u32 s2, 0
	s_mov_b32 s21, 0
	s_cselect_b32 s20, s3, s5
	s_wait_kmcnt 0x0
	s_cmp_ge_u32 s20, s22
	s_cbranch_scc1 .LBB69_15
; %bb.1:
	s_clause 0x3
	s_load_b32 s3, s[0:1], 0x74
	s_load_b128 s[12:15], s[0:1], 0x48
	s_load_b256 s[4:11], s[0:1], 0x0
	s_load_b64 s[24:25], s[0:1], 0x38
	s_bfe_u32 s16, ttmp6, 0x4000c
	s_and_b32 s17, ttmp6, 15
	s_add_co_i32 s16, s16, 1
	v_mov_b32_e32 v1, 0
	s_mul_i32 s16, ttmp9, s16
	s_delay_alu instid0(SALU_CYCLE_1)
	s_add_co_i32 s23, s17, s16
	s_load_b128 s[16:19], s[0:1], 0x28
	s_wait_kmcnt 0x0
	s_and_b32 s3, s3, 0xffff
	s_cmp_eq_u32 s2, 0
	s_cselect_b32 s0, ttmp9, s23
	s_lshl_b64 s[14:15], s[14:15], 4
	v_mad_nc_u64_u32 v[14:15], s3, s0, v[0:1]
	s_delay_alu instid0(VALU_DEP_1)
	v_cmp_gt_u64_e64 s0, s[4:5], v[14:15]
	s_lshl_b64 s[4:5], s[10:11], 4
	s_lshl_b64 s[10:11], s[24:25], 4
	s_branch .LBB69_5
.LBB69_2:                               ;   in Loop: Header=BB69_5 Depth=1
	s_delay_alu instid0(VALU_DEP_1) | instskip(NEXT) | instid1(VALU_DEP_2)
	v_add_f64_e32 v[10:11], v[10:11], v[6:7]
	v_add_f64_e32 v[12:13], v[16:17], v[12:13]
.LBB69_3:                               ;   in Loop: Header=BB69_5 Depth=1
	s_load_b64 s[2:3], s[12:13], s20 offset:0x0 scale_offset
	s_wait_kmcnt 0x0
	s_add_nc_u64 s[2:3], s[2:3], s[14:15]
	s_delay_alu instid0(SALU_CYCLE_1)
	v_lshl_add_u64 v[2:3], v[14:15], 4, s[2:3]
	flat_store_b128 v[2:3], v[10:13]
.LBB69_4:                               ;   in Loop: Header=BB69_5 Depth=1
	s_wait_xcnt 0x0
	s_or_b32 exec_lo, exec_lo, s23
	s_add_co_i32 s20, s20, 0x10000
	s_delay_alu instid0(SALU_CYCLE_1)
	s_cmp_lt_u32 s20, s22
	s_cbranch_scc0 .LBB69_15
.LBB69_5:                               ; =>This Inner Loop Header: Depth=1
	s_and_saveexec_b32 s23, s0
	s_cbranch_execz .LBB69_4
; %bb.6:                                ;   in Loop: Header=BB69_5 Depth=1
	s_clause 0x1
	global_load_b128 v[2:5], v1, s[6:7]
	global_load_b128 v[6:9], v1, s[16:17]
	s_wait_loadcnt 0x1
	v_cmp_eq_f64_e32 vcc_lo, 0, v[2:3]
	v_cmp_eq_f64_e64 s3, 0, v[4:5]
	s_wait_loadcnt 0x0
	v_cmp_neq_f64_e64 s1, 0, v[6:7]
	v_cmp_neq_f64_e64 s2, 0, v[8:9]
	s_and_b32 s3, vcc_lo, s3
	s_delay_alu instid0(SALU_CYCLE_1)
	s_and_not1_b32 vcc_lo, exec_lo, s3
	s_mov_b32 s3, -1
	s_cbranch_vccnz .LBB69_8
; %bb.7:                                ;   in Loop: Header=BB69_5 Depth=1
	s_or_b32 s3, s1, s2
.LBB69_8:                               ;   in Loop: Header=BB69_5 Depth=1
	v_mov_b64_e32 v[12:13], 0
	v_mov_b64_e32 v[10:11], 0
	s_and_not1_b32 vcc_lo, exec_lo, s3
	s_cbranch_vccnz .LBB69_3
; %bb.9:                                ;   in Loop: Header=BB69_5 Depth=1
	v_cmp_neq_f64_e32 vcc_lo, 0, v[2:3]
	v_cmp_neq_f64_e64 s1, 0, v[4:5]
	s_mov_b64 s[2:3], 0
	s_or_b32 s1, vcc_lo, s1
	s_delay_alu instid0(SALU_CYCLE_1)
	v_cndmask_b32_e64 v0, 0, 1, s1
	s_and_not1_b32 vcc_lo, exec_lo, s1
	s_cbranch_vccnz .LBB69_11
; %bb.10:                               ;   in Loop: Header=BB69_5 Depth=1
	s_lshl_b64 s[2:3], s[20:21], 3
	s_delay_alu instid0(SALU_CYCLE_1)
	s_add_nc_u64 s[2:3], s[8:9], s[2:3]
	s_load_b64 s[2:3], s[2:3], 0x0
	s_wait_kmcnt 0x0
	s_wait_xcnt 0x0
	s_add_nc_u64 s[2:3], s[2:3], s[4:5]
.LBB69_11:                              ;   in Loop: Header=BB69_5 Depth=1
	v_cmp_neq_f64_e32 vcc_lo, 0, v[6:7]
	v_cmp_neq_f64_e64 s1, 0, v[8:9]
	v_mov_b64_e32 v[12:13], 0
	v_mov_b64_e32 v[16:17], 0
	v_mov_b64_e32 v[10:11], 0
	s_or_b32 s1, vcc_lo, s1
	s_delay_alu instid0(SALU_CYCLE_1)
	s_and_not1_b32 vcc_lo, exec_lo, s1
	s_cbranch_vccnz .LBB69_13
; %bb.12:                               ;   in Loop: Header=BB69_5 Depth=1
	s_lshl_b64 s[24:25], s[20:21], 3
	s_delay_alu instid0(SALU_CYCLE_1) | instskip(SKIP_4) | instid1(SALU_CYCLE_1)
	s_add_nc_u64 s[24:25], s[18:19], s[24:25]
	s_load_b64 s[24:25], s[24:25], 0x0
	s_wait_kmcnt 0x0
	s_wait_xcnt 0x0
	s_add_nc_u64 s[24:25], s[24:25], s[10:11]
	v_lshl_add_u64 v[10:11], v[14:15], 4, s[24:25]
	flat_load_b128 v[18:21], v[10:11]
	s_wait_loadcnt_dscnt 0x0
	s_wait_xcnt 0x0
	v_mul_f64_e32 v[10:11], v[8:9], v[20:21]
	v_mul_f64_e32 v[16:17], v[6:7], v[20:21]
	s_delay_alu instid0(VALU_DEP_2) | instskip(NEXT) | instid1(VALU_DEP_2)
	v_fma_f64 v[10:11], v[6:7], v[18:19], -v[10:11]
	v_fmac_f64_e32 v[16:17], v[8:9], v[18:19]
.LBB69_13:                              ;   in Loop: Header=BB69_5 Depth=1
	v_cmp_ne_u32_e32 vcc_lo, 1, v0
	v_mov_b64_e32 v[6:7], 0
	s_cbranch_vccnz .LBB69_2
; %bb.14:                               ;   in Loop: Header=BB69_5 Depth=1
	v_lshl_add_u64 v[6:7], v[14:15], 4, s[2:3]
	flat_load_b128 v[18:21], v[6:7]
	s_wait_loadcnt_dscnt 0x0
	s_wait_xcnt 0x0
	v_mul_f64_e32 v[6:7], v[4:5], v[20:21]
	v_mul_f64_e32 v[12:13], v[2:3], v[20:21]
	s_delay_alu instid0(VALU_DEP_2) | instskip(NEXT) | instid1(VALU_DEP_2)
	v_fma_f64 v[6:7], v[2:3], v[18:19], -v[6:7]
	v_fmac_f64_e32 v[12:13], v[4:5], v[18:19]
	s_branch .LBB69_2
.LBB69_15:
	s_endpgm
	.section	.rodata,"a",@progbits
	.p2align	6, 0x0
	.amdhsa_kernel _ZL22rocblas_geam_1D_deviceILi256EPK19rocblas_complex_numIdEPKS3_PKPS1_EvmT0_T1_llS9_SA_llT2_lli
		.amdhsa_group_segment_fixed_size 0
		.amdhsa_private_segment_fixed_size 0
		.amdhsa_kernarg_size 360
		.amdhsa_user_sgpr_count 2
		.amdhsa_user_sgpr_dispatch_ptr 0
		.amdhsa_user_sgpr_queue_ptr 0
		.amdhsa_user_sgpr_kernarg_segment_ptr 1
		.amdhsa_user_sgpr_dispatch_id 0
		.amdhsa_user_sgpr_kernarg_preload_length 0
		.amdhsa_user_sgpr_kernarg_preload_offset 0
		.amdhsa_user_sgpr_private_segment_size 0
		.amdhsa_wavefront_size32 1
		.amdhsa_uses_dynamic_stack 0
		.amdhsa_enable_private_segment 0
		.amdhsa_system_sgpr_workgroup_id_x 1
		.amdhsa_system_sgpr_workgroup_id_y 0
		.amdhsa_system_sgpr_workgroup_id_z 1
		.amdhsa_system_sgpr_workgroup_info 0
		.amdhsa_system_vgpr_workitem_id 0
		.amdhsa_next_free_vgpr 22
		.amdhsa_next_free_sgpr 26
		.amdhsa_named_barrier_count 0
		.amdhsa_reserve_vcc 1
		.amdhsa_float_round_mode_32 0
		.amdhsa_float_round_mode_16_64 0
		.amdhsa_float_denorm_mode_32 3
		.amdhsa_float_denorm_mode_16_64 3
		.amdhsa_fp16_overflow 0
		.amdhsa_memory_ordered 1
		.amdhsa_forward_progress 1
		.amdhsa_inst_pref_size 6
		.amdhsa_round_robin_scheduling 0
		.amdhsa_exception_fp_ieee_invalid_op 0
		.amdhsa_exception_fp_denorm_src 0
		.amdhsa_exception_fp_ieee_div_zero 0
		.amdhsa_exception_fp_ieee_overflow 0
		.amdhsa_exception_fp_ieee_underflow 0
		.amdhsa_exception_fp_ieee_inexact 0
		.amdhsa_exception_int_div_zero 0
	.end_amdhsa_kernel
	.section	.text._ZL22rocblas_geam_1D_deviceILi256EPK19rocblas_complex_numIdEPKS3_PKPS1_EvmT0_T1_llS9_SA_llT2_lli,"axG",@progbits,_ZL22rocblas_geam_1D_deviceILi256EPK19rocblas_complex_numIdEPKS3_PKPS1_EvmT0_T1_llS9_SA_llT2_lli,comdat
.Lfunc_end69:
	.size	_ZL22rocblas_geam_1D_deviceILi256EPK19rocblas_complex_numIdEPKS3_PKPS1_EvmT0_T1_llS9_SA_llT2_lli, .Lfunc_end69-_ZL22rocblas_geam_1D_deviceILi256EPK19rocblas_complex_numIdEPKS3_PKPS1_EvmT0_T1_llS9_SA_llT2_lli
                                        ; -- End function
	.set _ZL22rocblas_geam_1D_deviceILi256EPK19rocblas_complex_numIdEPKS3_PKPS1_EvmT0_T1_llS9_SA_llT2_lli.num_vgpr, 22
	.set _ZL22rocblas_geam_1D_deviceILi256EPK19rocblas_complex_numIdEPKS3_PKPS1_EvmT0_T1_llS9_SA_llT2_lli.num_agpr, 0
	.set _ZL22rocblas_geam_1D_deviceILi256EPK19rocblas_complex_numIdEPKS3_PKPS1_EvmT0_T1_llS9_SA_llT2_lli.numbered_sgpr, 26
	.set _ZL22rocblas_geam_1D_deviceILi256EPK19rocblas_complex_numIdEPKS3_PKPS1_EvmT0_T1_llS9_SA_llT2_lli.num_named_barrier, 0
	.set _ZL22rocblas_geam_1D_deviceILi256EPK19rocblas_complex_numIdEPKS3_PKPS1_EvmT0_T1_llS9_SA_llT2_lli.private_seg_size, 0
	.set _ZL22rocblas_geam_1D_deviceILi256EPK19rocblas_complex_numIdEPKS3_PKPS1_EvmT0_T1_llS9_SA_llT2_lli.uses_vcc, 1
	.set _ZL22rocblas_geam_1D_deviceILi256EPK19rocblas_complex_numIdEPKS3_PKPS1_EvmT0_T1_llS9_SA_llT2_lli.uses_flat_scratch, 0
	.set _ZL22rocblas_geam_1D_deviceILi256EPK19rocblas_complex_numIdEPKS3_PKPS1_EvmT0_T1_llS9_SA_llT2_lli.has_dyn_sized_stack, 0
	.set _ZL22rocblas_geam_1D_deviceILi256EPK19rocblas_complex_numIdEPKS3_PKPS1_EvmT0_T1_llS9_SA_llT2_lli.has_recursion, 0
	.set _ZL22rocblas_geam_1D_deviceILi256EPK19rocblas_complex_numIdEPKS3_PKPS1_EvmT0_T1_llS9_SA_llT2_lli.has_indirect_call, 0
	.section	.AMDGPU.csdata,"",@progbits
; Kernel info:
; codeLenInByte = 660
; TotalNumSgprs: 28
; NumVgprs: 22
; ScratchSize: 0
; MemoryBound: 1
; FloatMode: 240
; IeeeMode: 1
; LDSByteSize: 0 bytes/workgroup (compile time only)
; SGPRBlocks: 0
; VGPRBlocks: 1
; NumSGPRsForWavesPerEU: 28
; NumVGPRsForWavesPerEU: 22
; NamedBarCnt: 0
; Occupancy: 16
; WaveLimiterHint : 1
; COMPUTE_PGM_RSRC2:SCRATCH_EN: 0
; COMPUTE_PGM_RSRC2:USER_SGPR: 2
; COMPUTE_PGM_RSRC2:TRAP_HANDLER: 0
; COMPUTE_PGM_RSRC2:TGID_X_EN: 1
; COMPUTE_PGM_RSRC2:TGID_Y_EN: 0
; COMPUTE_PGM_RSRC2:TGID_Z_EN: 1
; COMPUTE_PGM_RSRC2:TIDIG_COMP_CNT: 0
	.section	.text._ZL19rocblas_geam_deviceILi16ELi16E19rocblas_complex_numIdEPKPKS1_PKPS1_Ev18rocblas_operation_S9_iiT1_T2_lllSA_SB_lllT3_llli,"axG",@progbits,_ZL19rocblas_geam_deviceILi16ELi16E19rocblas_complex_numIdEPKPKS1_PKPS1_Ev18rocblas_operation_S9_iiT1_T2_lllSA_SB_lllT3_llli,comdat
	.globl	_ZL19rocblas_geam_deviceILi16ELi16E19rocblas_complex_numIdEPKPKS1_PKPS1_Ev18rocblas_operation_S9_iiT1_T2_lllSA_SB_lllT3_llli ; -- Begin function _ZL19rocblas_geam_deviceILi16ELi16E19rocblas_complex_numIdEPKPKS1_PKPS1_Ev18rocblas_operation_S9_iiT1_T2_lllSA_SB_lllT3_llli
	.p2align	8
	.type	_ZL19rocblas_geam_deviceILi16ELi16E19rocblas_complex_numIdEPKPKS1_PKPS1_Ev18rocblas_operation_S9_iiT1_T2_lllSA_SB_lllT3_llli,@function
_ZL19rocblas_geam_deviceILi16ELi16E19rocblas_complex_numIdEPKPKS1_PKPS1_Ev18rocblas_operation_S9_iiT1_T2_lllSA_SB_lllT3_llli: ; @_ZL19rocblas_geam_deviceILi16ELi16E19rocblas_complex_numIdEPKPKS1_PKPS1_Ev18rocblas_operation_S9_iiT1_T2_lllSA_SB_lllT3_llli
; %bb.0:
	s_load_b32 s33, s[0:1], 0x90
	s_bfe_u32 s2, ttmp6, 0x40014
	s_lshr_b32 s3, ttmp7, 16
	s_add_co_i32 s2, s2, 1
	s_bfe_u32 s4, ttmp6, 0x40008
	s_mul_i32 s2, s3, s2
	s_getreg_b32 s20, hwreg(HW_REG_IB_STS2, 6, 4)
	s_add_co_i32 s4, s4, s2
	s_cmp_eq_u32 s20, 0
	s_mov_b32 s29, 0
	s_cselect_b32 s28, s3, s4
	s_wait_kmcnt 0x0
	s_cmp_ge_u32 s28, s33
	s_cbranch_scc1 .LBB70_15
; %bb.1:
	s_load_b128 s[24:27], s[0:1], 0x0
	s_bfe_u32 s35, ttmp6, 0x4000c
	s_and_b32 s34, ttmp6, 15
	s_add_co_i32 s35, s35, 1
	s_clause 0x1
	s_load_b256 s[4:11], s[0:1], 0x10
	s_load_b256 s[12:19], s[0:1], 0x40
	s_mul_i32 s35, ttmp9, s35
	v_and_b32_e32 v2, 0x3ff, v0
	s_add_co_i32 s36, s34, s35
	s_load_b64 s[34:35], s[0:1], 0x80
	s_wait_kmcnt 0x0
	s_add_co_i32 s2, s26, -1
	s_delay_alu instid0(SALU_CYCLE_1) | instskip(SKIP_4) | instid1(SALU_CYCLE_1)
	s_ashr_i32 s3, s2, 31
	v_cmp_neq_f64_e64 s37, s[12:13], 0
	s_lshr_b32 s3, s3, 28
	v_cmp_neq_f64_e64 s40, s[14:15], 0
	s_add_co_i32 s2, s2, s3
	s_ashr_i32 s21, s2, 4
	s_delay_alu instid0(SALU_CYCLE_1) | instskip(SKIP_2) | instid1(SALU_CYCLE_3)
	s_add_co_i32 s22, s21, 1
	s_not_b32 s21, s21
	s_cvt_f32_u32 s2, s22
	v_rcp_iflag_f32_e32 v1, s2
	v_nop
	s_delay_alu instid0(TRANS32_DEP_1)
	v_readfirstlane_b32 s2, v1
	v_bfe_u32 v1, v0, 10, 10
	s_mul_f32 s23, s2, 0x4f7ffffe
	s_clause 0x1
	s_load_b64 s[2:3], s[0:1], 0x30
	s_load_b64 s[30:31], s[0:1], 0x60
	s_cvt_u32_f32 s23, s23
	s_delay_alu instid0(SALU_CYCLE_3) | instskip(NEXT) | instid1(SALU_CYCLE_1)
	s_mul_i32 s21, s21, s23
	s_mul_hi_u32 s21, s23, s21
	s_delay_alu instid0(SALU_CYCLE_1) | instskip(SKIP_4) | instid1(SALU_CYCLE_1)
	s_add_co_i32 s23, s23, s21
	s_cmp_eq_u32 s20, 0
	s_cselect_b32 s20, ttmp9, s36
	v_cmp_neq_f64_e64 s36, s[4:5], 0
	s_mul_hi_u32 s21, s20, s23
	s_mul_i32 s23, s21, s22
	s_add_co_i32 s38, s21, 1
	s_sub_co_i32 s23, s20, s23
	s_delay_alu instid0(SALU_CYCLE_1)
	s_sub_co_i32 s39, s23, s22
	s_cmp_ge_u32 s23, s22
	s_cselect_b32 s21, s38, s21
	s_cselect_b32 s23, s39, s23
	s_add_co_i32 s38, s21, 1
	s_cmp_ge_u32 s23, s22
	v_cmp_neq_f64_e64 s39, s[6:7], 0
	s_cselect_b32 s21, s38, s21
	s_delay_alu instid0(SALU_CYCLE_1) | instskip(SKIP_2) | instid1(SALU_CYCLE_1)
	s_mul_i32 s22, s21, s22
	v_lshl_add_u32 v0, s21, 4, v1
	s_sub_co_i32 s20, s20, s22
	v_lshl_add_u32 v8, s20, 4, v2
	s_load_b128 s[20:23], s[0:1], 0x70
	s_delay_alu instid0(VALU_DEP_2) | instskip(SKIP_1) | instid1(VALU_DEP_3)
	v_ashrrev_i32_e32 v1, 31, v0
	v_cmp_gt_i32_e32 vcc_lo, s27, v0
	v_ashrrev_i32_e32 v9, 31, v8
	s_wait_xcnt 0x0
	v_cmp_gt_i32_e64 s0, s26, v8
	s_wait_kmcnt 0x0
	v_mad_nc_u64_u32 v[2:3], s2, v8, v[0:1]
	v_mad_nc_u64_u32 v[4:5], s30, v8, v[0:1]
	v_mul_u64_e32 v[10:11], s[34:35], v[0:1]
	v_mad_nc_u64_u32 v[6:7], s2, v0, v[8:9]
	v_mad_nc_u64_u32 v[12:13], s30, v0, v[8:9]
	s_or_b32 s26, s37, s40
	v_mad_u32 v3, s3, v8, v3
	v_mad_u32 v5, s31, v8, v5
	s_delay_alu instid0(VALU_DEP_4) | instskip(NEXT) | instid1(VALU_DEP_4)
	v_mad_u32 v7, s3, v0, v7
	v_mad_u32 v0, s31, v0, v13
	s_and_b32 s31, s0, vcc_lo
	s_or_b32 s1, s36, s39
	s_delay_alu instid0(SALU_CYCLE_1) | instskip(SKIP_1) | instid1(VALU_DEP_4)
	s_xor_b32 s27, s1, -1
	s_cmp_eq_u32 s24, 0x6f
	v_mad_u32 v3, s2, v9, v3
	s_cselect_b32 vcc_lo, -1, 0
	s_cmp_eq_u32 s25, 0x6f
	s_delay_alu instid0(VALU_DEP_3) | instskip(NEXT) | instid1(VALU_DEP_3)
	v_mad_u32 v7, s2, v1, v7
	v_mad_u32 v0, s30, v1, v0
	s_cselect_b32 s2, -1, 0
	s_cmp_eq_u32 s24, 0x71
	v_cndmask_b32_e64 v16, 0, 1, s1
	v_dual_cndmask_b32 v12, v4, v12, s2 :: v_dual_cndmask_b32 v14, v2, v6, vcc_lo
	s_cselect_b32 s0, -1, 0
	s_cmp_eq_u32 s25, 0x71
	s_cselect_b32 s1, -1, 0
	s_delay_alu instid0(VALU_DEP_4) | instskip(SKIP_1) | instid1(VALU_DEP_1)
	v_cndmask_b32_e32 v15, v3, v7, vcc_lo
	v_mad_u32 v5, s30, v9, v5
	v_cndmask_b32_e64 v13, v5, v0, s2
	s_lshl_b64 s[2:3], s[10:11], 4
	s_lshl_b64 s[10:11], s[18:19], 4
	;; [unrolled: 1-line block ×3, first 2 shown]
	s_branch .LBB70_4
.LBB70_2:                               ;   in Loop: Header=BB70_4 Depth=1
	s_wait_loadcnt_dscnt 0x0
	s_delay_alu instid0(VALU_DEP_1) | instskip(SKIP_2) | instid1(SALU_CYCLE_1)
	v_xor_b32_e32 v17, 0x80000000, v7
	v_xor_b32_e32 v18, 0x80000000, v3
	s_lshl_b64 s[22:23], s[28:29], 3
	s_add_nc_u64 s[22:23], s[20:21], s[22:23]
	s_delay_alu instid0(VALU_DEP_1) | instskip(SKIP_2) | instid1(VALU_DEP_2)
	v_cndmask_b32_e64 v3, v3, v18, s0
	v_cndmask_b32_e64 v7, v7, v17, s1
	s_load_b64 s[22:23], s[22:23], 0x0
	v_mul_f64_e32 v[20:21], s[6:7], v[2:3]
	s_delay_alu instid0(VALU_DEP_2) | instskip(SKIP_4) | instid1(VALU_DEP_2)
	v_mul_f64_e32 v[18:19], s[14:15], v[6:7]
	v_mul_f64_e32 v[6:7], s[12:13], v[6:7]
	s_wait_kmcnt 0x0
	s_wait_xcnt 0x0
	s_add_nc_u64 s[22:23], s[22:23], s[18:19]
	v_fma_f64 v[18:19], s[12:13], v[4:5], -v[18:19]
	v_mul_f64_e32 v[2:3], s[4:5], v[2:3]
	s_delay_alu instid0(VALU_DEP_3) | instskip(SKIP_1) | instid1(VALU_DEP_3)
	v_fmac_f64_e32 v[6:7], s[14:15], v[4:5]
	v_fma_f64 v[4:5], s[4:5], v[0:1], -v[20:21]
	v_fmac_f64_e32 v[2:3], s[6:7], v[0:1]
	s_delay_alu instid0(VALU_DEP_2) | instskip(SKIP_1) | instid1(VALU_DEP_1)
	v_add_f64_e32 v[0:1], v[4:5], v[18:19]
	v_lshl_add_u64 v[4:5], v[10:11], 4, s[22:23]
	v_lshl_add_u64 v[4:5], v[8:9], 4, v[4:5]
	s_delay_alu instid0(VALU_DEP_4)
	v_add_f64_e32 v[2:3], v[2:3], v[6:7]
	flat_store_b128 v[4:5], v[0:3]
.LBB70_3:                               ;   in Loop: Header=BB70_4 Depth=1
	s_wait_xcnt 0x0
	s_or_b32 exec_lo, exec_lo, s30
	s_add_co_i32 s28, s28, 0x10000
	s_delay_alu instid0(SALU_CYCLE_1)
	s_cmp_lt_u32 s28, s33
	s_cbranch_scc0 .LBB70_15
.LBB70_4:                               ; =>This Inner Loop Header: Depth=1
	s_and_saveexec_b32 s30, s31
	s_cbranch_execz .LBB70_3
; %bb.5:                                ;   in Loop: Header=BB70_4 Depth=1
	s_and_not1_b32 vcc_lo, exec_lo, s27
	s_cbranch_vccnz .LBB70_7
; %bb.6:                                ;   in Loop: Header=BB70_4 Depth=1
	s_mov_b64 s[22:23], 0
	s_mov_b64 s[24:25], 0
	s_cbranch_execz .LBB70_8
	s_branch .LBB70_9
.LBB70_7:                               ;   in Loop: Header=BB70_4 Depth=1
	s_mov_b64 s[22:23], 0
	s_mov_b64 s[24:25], 0
.LBB70_8:                               ;   in Loop: Header=BB70_4 Depth=1
	s_lshl_b64 s[24:25], s[28:29], 3
	s_delay_alu instid0(SALU_CYCLE_1)
	s_add_nc_u64 s[24:25], s[8:9], s[24:25]
	s_load_b64 s[24:25], s[24:25], 0x0
	s_wait_kmcnt 0x0
	s_wait_xcnt 0x0
	s_add_nc_u64 s[24:25], s[24:25], s[2:3]
.LBB70_9:                               ;   in Loop: Header=BB70_4 Depth=1
	s_and_not1_b32 vcc_lo, exec_lo, s26
	s_cbranch_vccnz .LBB70_11
; %bb.10:                               ;   in Loop: Header=BB70_4 Depth=1
	s_lshl_b64 s[22:23], s[28:29], 3
	s_delay_alu instid0(SALU_CYCLE_1)
	s_add_nc_u64 s[22:23], s[16:17], s[22:23]
	s_load_b64 s[22:23], s[22:23], 0x0
	s_wait_kmcnt 0x0
	s_wait_xcnt 0x0
	s_add_nc_u64 s[22:23], s[22:23], s[10:11]
.LBB70_11:                              ;   in Loop: Header=BB70_4 Depth=1
	v_mov_b64_e32 v[4:5], 0
	v_cmp_ne_u32_e32 vcc_lo, 1, v16
	v_mov_b64_e32 v[0:1], 0
	v_mov_b64_e32 v[2:3], 0
	s_cbranch_vccnz .LBB70_13
; %bb.12:                               ;   in Loop: Header=BB70_4 Depth=1
	v_lshl_add_u64 v[0:1], v[14:15], 4, s[24:25]
	flat_load_b128 v[0:3], v[0:1]
.LBB70_13:                              ;   in Loop: Header=BB70_4 Depth=1
	v_mov_b64_e32 v[6:7], 0
	s_and_not1_b32 vcc_lo, exec_lo, s26
	s_cbranch_vccnz .LBB70_2
; %bb.14:                               ;   in Loop: Header=BB70_4 Depth=1
	v_lshl_add_u64 v[4:5], v[12:13], 4, s[22:23]
	flat_load_b128 v[4:7], v[4:5]
	s_branch .LBB70_2
.LBB70_15:
	s_endpgm
	.section	.rodata,"a",@progbits
	.p2align	6, 0x0
	.amdhsa_kernel _ZL19rocblas_geam_deviceILi16ELi16E19rocblas_complex_numIdEPKPKS1_PKPS1_Ev18rocblas_operation_S9_iiT1_T2_lllSA_SB_lllT3_llli
		.amdhsa_group_segment_fixed_size 0
		.amdhsa_private_segment_fixed_size 0
		.amdhsa_kernarg_size 148
		.amdhsa_user_sgpr_count 2
		.amdhsa_user_sgpr_dispatch_ptr 0
		.amdhsa_user_sgpr_queue_ptr 0
		.amdhsa_user_sgpr_kernarg_segment_ptr 1
		.amdhsa_user_sgpr_dispatch_id 0
		.amdhsa_user_sgpr_kernarg_preload_length 0
		.amdhsa_user_sgpr_kernarg_preload_offset 0
		.amdhsa_user_sgpr_private_segment_size 0
		.amdhsa_wavefront_size32 1
		.amdhsa_uses_dynamic_stack 0
		.amdhsa_enable_private_segment 0
		.amdhsa_system_sgpr_workgroup_id_x 1
		.amdhsa_system_sgpr_workgroup_id_y 0
		.amdhsa_system_sgpr_workgroup_id_z 1
		.amdhsa_system_sgpr_workgroup_info 0
		.amdhsa_system_vgpr_workitem_id 1
		.amdhsa_next_free_vgpr 22
		.amdhsa_next_free_sgpr 41
		.amdhsa_named_barrier_count 0
		.amdhsa_reserve_vcc 1
		.amdhsa_float_round_mode_32 0
		.amdhsa_float_round_mode_16_64 0
		.amdhsa_float_denorm_mode_32 3
		.amdhsa_float_denorm_mode_16_64 3
		.amdhsa_fp16_overflow 0
		.amdhsa_memory_ordered 1
		.amdhsa_forward_progress 1
		.amdhsa_inst_pref_size 8
		.amdhsa_round_robin_scheduling 0
		.amdhsa_exception_fp_ieee_invalid_op 0
		.amdhsa_exception_fp_denorm_src 0
		.amdhsa_exception_fp_ieee_div_zero 0
		.amdhsa_exception_fp_ieee_overflow 0
		.amdhsa_exception_fp_ieee_underflow 0
		.amdhsa_exception_fp_ieee_inexact 0
		.amdhsa_exception_int_div_zero 0
	.end_amdhsa_kernel
	.section	.text._ZL19rocblas_geam_deviceILi16ELi16E19rocblas_complex_numIdEPKPKS1_PKPS1_Ev18rocblas_operation_S9_iiT1_T2_lllSA_SB_lllT3_llli,"axG",@progbits,_ZL19rocblas_geam_deviceILi16ELi16E19rocblas_complex_numIdEPKPKS1_PKPS1_Ev18rocblas_operation_S9_iiT1_T2_lllSA_SB_lllT3_llli,comdat
.Lfunc_end70:
	.size	_ZL19rocblas_geam_deviceILi16ELi16E19rocblas_complex_numIdEPKPKS1_PKPS1_Ev18rocblas_operation_S9_iiT1_T2_lllSA_SB_lllT3_llli, .Lfunc_end70-_ZL19rocblas_geam_deviceILi16ELi16E19rocblas_complex_numIdEPKPKS1_PKPS1_Ev18rocblas_operation_S9_iiT1_T2_lllSA_SB_lllT3_llli
                                        ; -- End function
	.set _ZL19rocblas_geam_deviceILi16ELi16E19rocblas_complex_numIdEPKPKS1_PKPS1_Ev18rocblas_operation_S9_iiT1_T2_lllSA_SB_lllT3_llli.num_vgpr, 22
	.set _ZL19rocblas_geam_deviceILi16ELi16E19rocblas_complex_numIdEPKPKS1_PKPS1_Ev18rocblas_operation_S9_iiT1_T2_lllSA_SB_lllT3_llli.num_agpr, 0
	.set _ZL19rocblas_geam_deviceILi16ELi16E19rocblas_complex_numIdEPKPKS1_PKPS1_Ev18rocblas_operation_S9_iiT1_T2_lllSA_SB_lllT3_llli.numbered_sgpr, 41
	.set _ZL19rocblas_geam_deviceILi16ELi16E19rocblas_complex_numIdEPKPKS1_PKPS1_Ev18rocblas_operation_S9_iiT1_T2_lllSA_SB_lllT3_llli.num_named_barrier, 0
	.set _ZL19rocblas_geam_deviceILi16ELi16E19rocblas_complex_numIdEPKPKS1_PKPS1_Ev18rocblas_operation_S9_iiT1_T2_lllSA_SB_lllT3_llli.private_seg_size, 0
	.set _ZL19rocblas_geam_deviceILi16ELi16E19rocblas_complex_numIdEPKPKS1_PKPS1_Ev18rocblas_operation_S9_iiT1_T2_lllSA_SB_lllT3_llli.uses_vcc, 1
	.set _ZL19rocblas_geam_deviceILi16ELi16E19rocblas_complex_numIdEPKPKS1_PKPS1_Ev18rocblas_operation_S9_iiT1_T2_lllSA_SB_lllT3_llli.uses_flat_scratch, 0
	.set _ZL19rocblas_geam_deviceILi16ELi16E19rocblas_complex_numIdEPKPKS1_PKPS1_Ev18rocblas_operation_S9_iiT1_T2_lllSA_SB_lllT3_llli.has_dyn_sized_stack, 0
	.set _ZL19rocblas_geam_deviceILi16ELi16E19rocblas_complex_numIdEPKPKS1_PKPS1_Ev18rocblas_operation_S9_iiT1_T2_lllSA_SB_lllT3_llli.has_recursion, 0
	.set _ZL19rocblas_geam_deviceILi16ELi16E19rocblas_complex_numIdEPKPKS1_PKPS1_Ev18rocblas_operation_S9_iiT1_T2_lllSA_SB_lllT3_llli.has_indirect_call, 0
	.section	.AMDGPU.csdata,"",@progbits
; Kernel info:
; codeLenInByte = 1024
; TotalNumSgprs: 43
; NumVgprs: 22
; ScratchSize: 0
; MemoryBound: 1
; FloatMode: 240
; IeeeMode: 1
; LDSByteSize: 0 bytes/workgroup (compile time only)
; SGPRBlocks: 0
; VGPRBlocks: 1
; NumSGPRsForWavesPerEU: 43
; NumVGPRsForWavesPerEU: 22
; NamedBarCnt: 0
; Occupancy: 16
; WaveLimiterHint : 1
; COMPUTE_PGM_RSRC2:SCRATCH_EN: 0
; COMPUTE_PGM_RSRC2:USER_SGPR: 2
; COMPUTE_PGM_RSRC2:TRAP_HANDLER: 0
; COMPUTE_PGM_RSRC2:TGID_X_EN: 1
; COMPUTE_PGM_RSRC2:TGID_Y_EN: 0
; COMPUTE_PGM_RSRC2:TGID_Z_EN: 1
; COMPUTE_PGM_RSRC2:TIDIG_COMP_CNT: 1
	.section	.text._ZL19rocblas_geam_deviceILi16ELi16EPK19rocblas_complex_numIdEPKS3_PKPS1_Ev18rocblas_operation_S9_iiT1_T2_lllSA_SB_lllT3_llli,"axG",@progbits,_ZL19rocblas_geam_deviceILi16ELi16EPK19rocblas_complex_numIdEPKS3_PKPS1_Ev18rocblas_operation_S9_iiT1_T2_lllSA_SB_lllT3_llli,comdat
	.globl	_ZL19rocblas_geam_deviceILi16ELi16EPK19rocblas_complex_numIdEPKS3_PKPS1_Ev18rocblas_operation_S9_iiT1_T2_lllSA_SB_lllT3_llli ; -- Begin function _ZL19rocblas_geam_deviceILi16ELi16EPK19rocblas_complex_numIdEPKS3_PKPS1_Ev18rocblas_operation_S9_iiT1_T2_lllSA_SB_lllT3_llli
	.p2align	8
	.type	_ZL19rocblas_geam_deviceILi16ELi16EPK19rocblas_complex_numIdEPKS3_PKPS1_Ev18rocblas_operation_S9_iiT1_T2_lllSA_SB_lllT3_llli,@function
_ZL19rocblas_geam_deviceILi16ELi16EPK19rocblas_complex_numIdEPKS3_PKPS1_Ev18rocblas_operation_S9_iiT1_T2_lllSA_SB_lllT3_llli: ; @_ZL19rocblas_geam_deviceILi16ELi16EPK19rocblas_complex_numIdEPKS3_PKPS1_Ev18rocblas_operation_S9_iiT1_T2_lllSA_SB_lllT3_llli
; %bb.0:
	s_load_b32 s3, s[0:1], 0x80
	s_bfe_u32 s2, ttmp6, 0x40014
	s_lshr_b32 s4, ttmp7, 16
	s_add_co_i32 s2, s2, 1
	s_bfe_u32 s6, ttmp6, 0x40008
	s_mul_i32 s5, s4, s2
	s_getreg_b32 s2, hwreg(HW_REG_IB_STS2, 6, 4)
	s_add_co_i32 s6, s6, s5
	s_cmp_eq_u32 s2, 0
	s_mov_b32 s29, 0
	s_cselect_b32 s28, s4, s6
	s_wait_kmcnt 0x0
	s_cmp_ge_u32 s28, s3
	s_cbranch_scc1 .LBB71_15
; %bb.1:
	s_load_b128 s[24:27], s[0:1], 0x0
	s_bfe_u32 s7, ttmp6, 0x4000c
	s_and_b32 s6, ttmp6, 15
	s_add_co_i32 s7, s7, 1
	v_and_b32_e32 v2, 0x3ff, v0
	s_mul_i32 s7, ttmp9, s7
	s_load_b256 s[12:19], s[0:1], 0x38
	s_add_co_i32 s6, s6, s7
	v_mov_b32_e32 v24, 0
	s_wait_kmcnt 0x0
	s_add_co_i32 s4, s26, -1
	s_delay_alu instid0(SALU_CYCLE_1) | instskip(NEXT) | instid1(SALU_CYCLE_1)
	s_ashr_i32 s5, s4, 31
	s_lshr_b32 s5, s5, 28
	s_delay_alu instid0(SALU_CYCLE_1) | instskip(NEXT) | instid1(SALU_CYCLE_1)
	s_add_co_i32 s4, s4, s5
	s_ashr_i32 s4, s4, 4
	s_delay_alu instid0(SALU_CYCLE_1) | instskip(SKIP_2) | instid1(SALU_CYCLE_3)
	s_add_co_i32 s20, s4, 1
	s_not_b32 s4, s4
	s_cvt_f32_u32 s5, s20
	v_rcp_iflag_f32_e32 v1, s5
	v_nop
	s_delay_alu instid0(TRANS32_DEP_1) | instskip(SKIP_2) | instid1(SALU_CYCLE_3)
	v_readfirstlane_b32 s5, v1
	v_bfe_u32 v1, v0, 10, 10
	s_mul_f32 s5, s5, 0x4f7ffffe
	s_cvt_u32_f32 s5, s5
	s_delay_alu instid0(SALU_CYCLE_3) | instskip(NEXT) | instid1(SALU_CYCLE_1)
	s_mul_i32 s4, s4, s5
	s_mul_hi_u32 s4, s5, s4
	s_delay_alu instid0(SALU_CYCLE_1) | instskip(SKIP_2) | instid1(SALU_CYCLE_1)
	s_add_co_i32 s5, s5, s4
	s_cmp_eq_u32 s2, 0
	s_cselect_b32 s2, ttmp9, s6
	s_mul_hi_u32 s21, s2, s5
	s_load_b256 s[4:11], s[0:1], 0x10
	s_mul_i32 s22, s21, s20
	s_add_co_i32 s23, s21, 1
	s_sub_co_i32 s22, s2, s22
	s_delay_alu instid0(SALU_CYCLE_1)
	s_sub_co_i32 s30, s22, s20
	s_cmp_ge_u32 s22, s20
	s_cselect_b32 s21, s23, s21
	s_cselect_b32 s22, s30, s22
	s_add_co_i32 s23, s21, 1
	s_cmp_ge_u32 s22, s20
	s_load_b64 s[30:31], s[0:1], 0x70
	s_cselect_b32 s21, s23, s21
	s_delay_alu instid0(SALU_CYCLE_1) | instskip(SKIP_4) | instid1(VALU_DEP_2)
	s_mul_i32 s20, s21, s20
	v_lshl_add_u32 v0, s21, 4, v1
	s_sub_co_i32 s2, s2, s20
	s_load_b128 s[20:23], s[0:1], 0x60
	v_lshl_add_u32 v16, s2, 4, v2
	v_cmp_gt_i32_e32 vcc_lo, s27, v0
	s_wait_xcnt 0x0
	s_delay_alu instid0(VALU_DEP_2)
	v_cmp_gt_i32_e64 s0, s26, v16
	s_and_b32 s26, s0, vcc_lo
	s_cmp_eq_u32 s24, 0x6f
	s_cselect_b32 vcc_lo, -1, 0
	s_cmp_eq_u32 s25, 0x6f
	v_ashrrev_i32_e32 v17, 31, v16
	s_cselect_b32 s2, -1, 0
	v_ashrrev_i32_e32 v1, 31, v0
	s_cmp_eq_u32 s24, 0x71
	s_wait_kmcnt 0x0
	v_mad_nc_u64_u32 v[6:7], s10, v0, v[16:17]
	v_mad_nc_u64_u32 v[8:9], s18, v0, v[16:17]
	;; [unrolled: 1-line block ×4, first 2 shown]
	v_mul_u64_e32 v[18:19], s[30:31], v[0:1]
	s_cselect_b32 s0, -1, 0
	s_cmp_eq_u32 s25, 0x71
	s_cselect_b32 s1, -1, 0
	s_lshl_b64 s[8:9], s[8:9], 4
	v_mad_u32 v7, s11, v0, v7
	v_mad_u32 v0, s19, v0, v9
	;; [unrolled: 1-line block ×4, first 2 shown]
	v_dual_cndmask_b32 v20, v4, v8, s2 :: v_dual_cndmask_b32 v22, v2, v6, vcc_lo
	s_delay_alu instid0(VALU_DEP_4) | instskip(NEXT) | instid1(VALU_DEP_4)
	v_mad_u32 v0, s18, v1, v0
	v_mad_u32 v5, s18, v17, v5
	s_delay_alu instid0(VALU_DEP_4) | instskip(NEXT) | instid1(VALU_DEP_2)
	v_mad_u32 v3, s10, v17, v3
	v_cndmask_b32_e64 v21, v5, v0, s2
	v_mad_u32 v7, s10, v1, v7
	s_lshl_b64 s[10:11], s[16:17], 4
	s_lshl_b64 s[16:17], s[22:23], 4
	s_delay_alu instid0(VALU_DEP_1)
	v_cndmask_b32_e32 v23, v3, v7, vcc_lo
	s_branch .LBB71_4
.LBB71_2:                               ;   in Loop: Header=BB71_4 Depth=1
	s_wait_loadcnt_dscnt 0x0
	s_delay_alu instid0(VALU_DEP_1) | instskip(SKIP_2) | instid1(SALU_CYCLE_1)
	v_xor_b32_e32 v25, 0x80000000, v15
	v_xor_b32_e32 v26, 0x80000000, v11
	s_lshl_b64 s[18:19], s[28:29], 3
	s_add_nc_u64 s[18:19], s[20:21], s[18:19]
	s_delay_alu instid0(VALU_DEP_1) | instskip(SKIP_2) | instid1(VALU_DEP_2)
	v_cndmask_b32_e64 v11, v11, v26, s0
	v_cndmask_b32_e64 v15, v15, v25, s1
	s_load_b64 s[18:19], s[18:19], 0x0
	v_mul_f64_e32 v[28:29], v[2:3], v[10:11]
	v_mul_f64_e32 v[10:11], v[0:1], v[10:11]
	s_delay_alu instid0(VALU_DEP_3) | instskip(SKIP_4) | instid1(VALU_DEP_4)
	v_mul_f64_e32 v[26:27], v[6:7], v[14:15]
	v_mul_f64_e32 v[14:15], v[4:5], v[14:15]
	s_wait_kmcnt 0x0
	s_wait_xcnt 0x0
	s_add_nc_u64 s[18:19], s[18:19], s[16:17]
	v_fma_f64 v[0:1], v[0:1], v[8:9], -v[28:29]
	s_delay_alu instid0(VALU_DEP_4) | instskip(NEXT) | instid1(VALU_DEP_4)
	v_fmac_f64_e32 v[10:11], v[2:3], v[8:9]
	v_fma_f64 v[4:5], v[4:5], v[12:13], -v[26:27]
	s_delay_alu instid0(VALU_DEP_4) | instskip(NEXT) | instid1(VALU_DEP_2)
	v_fmac_f64_e32 v[14:15], v[6:7], v[12:13]
	v_add_f64_e32 v[0:1], v[0:1], v[4:5]
	s_delay_alu instid0(VALU_DEP_2) | instskip(SKIP_1) | instid1(VALU_DEP_1)
	v_add_f64_e32 v[2:3], v[10:11], v[14:15]
	v_lshl_add_u64 v[4:5], v[18:19], 4, s[18:19]
	v_lshl_add_u64 v[4:5], v[16:17], 4, v[4:5]
	flat_store_b128 v[4:5], v[0:3]
.LBB71_3:                               ;   in Loop: Header=BB71_4 Depth=1
	s_wait_xcnt 0x0
	s_or_b32 exec_lo, exec_lo, s24
	s_add_co_i32 s28, s28, 0x10000
	s_delay_alu instid0(SALU_CYCLE_1)
	s_cmp_lt_u32 s28, s3
	s_cbranch_scc0 .LBB71_15
.LBB71_4:                               ; =>This Inner Loop Header: Depth=1
	s_and_saveexec_b32 s24, s26
	s_cbranch_execz .LBB71_3
; %bb.5:                                ;   in Loop: Header=BB71_4 Depth=1
	s_clause 0x1
	global_load_b128 v[0:3], v24, s[4:5]
	global_load_b128 v[4:7], v24, s[12:13]
	s_wait_loadcnt 0x1
	v_cmp_neq_f64_e32 vcc_lo, 0, v[0:1]
	v_cmp_neq_f64_e64 s2, 0, v[2:3]
	s_or_b32 s25, vcc_lo, s2
	s_delay_alu instid0(SALU_CYCLE_1)
	s_and_b32 vcc_lo, exec_lo, s25
	s_cbranch_vccnz .LBB71_7
; %bb.6:                                ;   in Loop: Header=BB71_4 Depth=1
	s_mov_b64 s[18:19], 0
	s_mov_b64 s[22:23], 0
	s_cbranch_execz .LBB71_8
	s_branch .LBB71_9
.LBB71_7:                               ;   in Loop: Header=BB71_4 Depth=1
	s_mov_b64 s[18:19], 0
	s_mov_b64 s[22:23], 0
.LBB71_8:                               ;   in Loop: Header=BB71_4 Depth=1
	s_lshl_b64 s[22:23], s[28:29], 3
	s_delay_alu instid0(SALU_CYCLE_1)
	s_add_nc_u64 s[22:23], s[6:7], s[22:23]
	s_load_b64 s[22:23], s[22:23], 0x0
	s_wait_kmcnt 0x0
	s_wait_xcnt 0x0
	s_add_nc_u64 s[22:23], s[22:23], s[8:9]
.LBB71_9:                               ;   in Loop: Header=BB71_4 Depth=1
	s_wait_loadcnt 0x0
	v_cmp_neq_f64_e32 vcc_lo, 0, v[4:5]
	v_cmp_neq_f64_e64 s2, 0, v[6:7]
	s_or_b32 s2, vcc_lo, s2
	s_delay_alu instid0(SALU_CYCLE_1)
	v_cndmask_b32_e64 v14, 0, 1, s2
	s_and_not1_b32 vcc_lo, exec_lo, s2
	s_cbranch_vccnz .LBB71_11
; %bb.10:                               ;   in Loop: Header=BB71_4 Depth=1
	s_lshl_b64 s[18:19], s[28:29], 3
	s_delay_alu instid0(SALU_CYCLE_1)
	s_add_nc_u64 s[18:19], s[14:15], s[18:19]
	s_load_b64 s[18:19], s[18:19], 0x0
	s_wait_kmcnt 0x0
	s_wait_xcnt 0x0
	s_add_nc_u64 s[18:19], s[18:19], s[10:11]
.LBB71_11:                              ;   in Loop: Header=BB71_4 Depth=1
	v_mov_b64_e32 v[12:13], 0
	v_mov_b64_e32 v[8:9], 0
	;; [unrolled: 1-line block ×3, first 2 shown]
	s_and_not1_b32 vcc_lo, exec_lo, s25
	s_cbranch_vccnz .LBB71_13
; %bb.12:                               ;   in Loop: Header=BB71_4 Depth=1
	v_lshl_add_u64 v[8:9], v[22:23], 4, s[22:23]
	flat_load_b128 v[8:11], v[8:9]
.LBB71_13:                              ;   in Loop: Header=BB71_4 Depth=1
	v_cmp_ne_u32_e32 vcc_lo, 1, v14
	v_mov_b64_e32 v[14:15], 0
	s_cbranch_vccnz .LBB71_2
; %bb.14:                               ;   in Loop: Header=BB71_4 Depth=1
	v_lshl_add_u64 v[12:13], v[20:21], 4, s[18:19]
	flat_load_b128 v[12:15], v[12:13]
	s_branch .LBB71_2
.LBB71_15:
	s_endpgm
	.section	.rodata,"a",@progbits
	.p2align	6, 0x0
	.amdhsa_kernel _ZL19rocblas_geam_deviceILi16ELi16EPK19rocblas_complex_numIdEPKS3_PKPS1_Ev18rocblas_operation_S9_iiT1_T2_lllSA_SB_lllT3_llli
		.amdhsa_group_segment_fixed_size 0
		.amdhsa_private_segment_fixed_size 0
		.amdhsa_kernarg_size 132
		.amdhsa_user_sgpr_count 2
		.amdhsa_user_sgpr_dispatch_ptr 0
		.amdhsa_user_sgpr_queue_ptr 0
		.amdhsa_user_sgpr_kernarg_segment_ptr 1
		.amdhsa_user_sgpr_dispatch_id 0
		.amdhsa_user_sgpr_kernarg_preload_length 0
		.amdhsa_user_sgpr_kernarg_preload_offset 0
		.amdhsa_user_sgpr_private_segment_size 0
		.amdhsa_wavefront_size32 1
		.amdhsa_uses_dynamic_stack 0
		.amdhsa_enable_private_segment 0
		.amdhsa_system_sgpr_workgroup_id_x 1
		.amdhsa_system_sgpr_workgroup_id_y 0
		.amdhsa_system_sgpr_workgroup_id_z 1
		.amdhsa_system_sgpr_workgroup_info 0
		.amdhsa_system_vgpr_workitem_id 1
		.amdhsa_next_free_vgpr 30
		.amdhsa_next_free_sgpr 32
		.amdhsa_named_barrier_count 0
		.amdhsa_reserve_vcc 1
		.amdhsa_float_round_mode_32 0
		.amdhsa_float_round_mode_16_64 0
		.amdhsa_float_denorm_mode_32 3
		.amdhsa_float_denorm_mode_16_64 3
		.amdhsa_fp16_overflow 0
		.amdhsa_memory_ordered 1
		.amdhsa_forward_progress 1
		.amdhsa_inst_pref_size 9
		.amdhsa_round_robin_scheduling 0
		.amdhsa_exception_fp_ieee_invalid_op 0
		.amdhsa_exception_fp_denorm_src 0
		.amdhsa_exception_fp_ieee_div_zero 0
		.amdhsa_exception_fp_ieee_overflow 0
		.amdhsa_exception_fp_ieee_underflow 0
		.amdhsa_exception_fp_ieee_inexact 0
		.amdhsa_exception_int_div_zero 0
	.end_amdhsa_kernel
	.section	.text._ZL19rocblas_geam_deviceILi16ELi16EPK19rocblas_complex_numIdEPKS3_PKPS1_Ev18rocblas_operation_S9_iiT1_T2_lllSA_SB_lllT3_llli,"axG",@progbits,_ZL19rocblas_geam_deviceILi16ELi16EPK19rocblas_complex_numIdEPKS3_PKPS1_Ev18rocblas_operation_S9_iiT1_T2_lllSA_SB_lllT3_llli,comdat
.Lfunc_end71:
	.size	_ZL19rocblas_geam_deviceILi16ELi16EPK19rocblas_complex_numIdEPKS3_PKPS1_Ev18rocblas_operation_S9_iiT1_T2_lllSA_SB_lllT3_llli, .Lfunc_end71-_ZL19rocblas_geam_deviceILi16ELi16EPK19rocblas_complex_numIdEPKS3_PKPS1_Ev18rocblas_operation_S9_iiT1_T2_lllSA_SB_lllT3_llli
                                        ; -- End function
	.set _ZL19rocblas_geam_deviceILi16ELi16EPK19rocblas_complex_numIdEPKS3_PKPS1_Ev18rocblas_operation_S9_iiT1_T2_lllSA_SB_lllT3_llli.num_vgpr, 30
	.set _ZL19rocblas_geam_deviceILi16ELi16EPK19rocblas_complex_numIdEPKS3_PKPS1_Ev18rocblas_operation_S9_iiT1_T2_lllSA_SB_lllT3_llli.num_agpr, 0
	.set _ZL19rocblas_geam_deviceILi16ELi16EPK19rocblas_complex_numIdEPKS3_PKPS1_Ev18rocblas_operation_S9_iiT1_T2_lllSA_SB_lllT3_llli.numbered_sgpr, 32
	.set _ZL19rocblas_geam_deviceILi16ELi16EPK19rocblas_complex_numIdEPKS3_PKPS1_Ev18rocblas_operation_S9_iiT1_T2_lllSA_SB_lllT3_llli.num_named_barrier, 0
	.set _ZL19rocblas_geam_deviceILi16ELi16EPK19rocblas_complex_numIdEPKS3_PKPS1_Ev18rocblas_operation_S9_iiT1_T2_lllSA_SB_lllT3_llli.private_seg_size, 0
	.set _ZL19rocblas_geam_deviceILi16ELi16EPK19rocblas_complex_numIdEPKS3_PKPS1_Ev18rocblas_operation_S9_iiT1_T2_lllSA_SB_lllT3_llli.uses_vcc, 1
	.set _ZL19rocblas_geam_deviceILi16ELi16EPK19rocblas_complex_numIdEPKS3_PKPS1_Ev18rocblas_operation_S9_iiT1_T2_lllSA_SB_lllT3_llli.uses_flat_scratch, 0
	.set _ZL19rocblas_geam_deviceILi16ELi16EPK19rocblas_complex_numIdEPKS3_PKPS1_Ev18rocblas_operation_S9_iiT1_T2_lllSA_SB_lllT3_llli.has_dyn_sized_stack, 0
	.set _ZL19rocblas_geam_deviceILi16ELi16EPK19rocblas_complex_numIdEPKS3_PKPS1_Ev18rocblas_operation_S9_iiT1_T2_lllSA_SB_lllT3_llli.has_recursion, 0
	.set _ZL19rocblas_geam_deviceILi16ELi16EPK19rocblas_complex_numIdEPKS3_PKPS1_Ev18rocblas_operation_S9_iiT1_T2_lllSA_SB_lllT3_llli.has_indirect_call, 0
	.section	.AMDGPU.csdata,"",@progbits
; Kernel info:
; codeLenInByte = 1036
; TotalNumSgprs: 34
; NumVgprs: 30
; ScratchSize: 0
; MemoryBound: 1
; FloatMode: 240
; IeeeMode: 1
; LDSByteSize: 0 bytes/workgroup (compile time only)
; SGPRBlocks: 0
; VGPRBlocks: 1
; NumSGPRsForWavesPerEU: 34
; NumVGPRsForWavesPerEU: 30
; NamedBarCnt: 0
; Occupancy: 16
; WaveLimiterHint : 1
; COMPUTE_PGM_RSRC2:SCRATCH_EN: 0
; COMPUTE_PGM_RSRC2:USER_SGPR: 2
; COMPUTE_PGM_RSRC2:TRAP_HANDLER: 0
; COMPUTE_PGM_RSRC2:TGID_X_EN: 1
; COMPUTE_PGM_RSRC2:TGID_Y_EN: 0
; COMPUTE_PGM_RSRC2:TGID_Z_EN: 1
; COMPUTE_PGM_RSRC2:TIDIG_COMP_CNT: 1
	.section	.AMDGPU.gpr_maximums,"",@progbits
	.set amdgpu.max_num_vgpr, 0
	.set amdgpu.max_num_agpr, 0
	.set amdgpu.max_num_sgpr, 0
	.section	.AMDGPU.csdata,"",@progbits
	.type	__hip_cuid_519e2b7df1b13ec4,@object ; @__hip_cuid_519e2b7df1b13ec4
	.section	.bss,"aw",@nobits
	.globl	__hip_cuid_519e2b7df1b13ec4
__hip_cuid_519e2b7df1b13ec4:
	.byte	0                               ; 0x0
	.size	__hip_cuid_519e2b7df1b13ec4, 1

	.ident	"AMD clang version 22.0.0git (https://github.com/RadeonOpenCompute/llvm-project roc-7.2.4 26084 f58b06dce1f9c15707c5f808fd002e18c2accf7e)"
	.section	".note.GNU-stack","",@progbits
	.addrsig
	.addrsig_sym __hip_cuid_519e2b7df1b13ec4
	.amdgpu_metadata
---
amdhsa.kernels:
  - .args:
      - .offset:         0
        .size:           4
        .value_kind:     by_value
      - .offset:         4
        .size:           4
        .value_kind:     by_value
      - .address_space:  global
        .offset:         8
        .size:           8
        .value_kind:     global_buffer
      - .offset:         16
        .size:           8
        .value_kind:     by_value
      - .offset:         24
        .size:           8
        .value_kind:     by_value
      - .offset:         32
        .size:           8
        .value_kind:     by_value
      - .offset:         40
        .size:           4
        .value_kind:     by_value
    .group_segment_fixed_size: 0
    .kernarg_segment_align: 8
    .kernarg_segment_size: 44
    .language:       OpenCL C
    .language_version:
      - 2
      - 0
    .max_flat_workgroup_size: 256
    .name:           _ZL31rocblas_geam_zero_matrix_deviceILi16ELi16EPfEviiT1_llli
    .private_segment_fixed_size: 0
    .sgpr_count:     22
    .sgpr_spill_count: 0
    .symbol:         _ZL31rocblas_geam_zero_matrix_deviceILi16ELi16EPfEviiT1_llli.kd
    .uniform_work_group_size: 1
    .uses_dynamic_stack: false
    .vgpr_count:     6
    .vgpr_spill_count: 0
    .wavefront_size: 32
  - .args:
      - .offset:         0
        .size:           4
        .value_kind:     by_value
      - .offset:         4
        .size:           4
        .value_kind:     by_value
      - .offset:         8
        .size:           4
        .value_kind:     by_value
      - .offset:         12
        .size:           4
        .value_kind:     by_value
      - .offset:         16
        .size:           4
        .value_kind:     by_value
      - .address_space:  global
        .offset:         24
        .size:           8
        .value_kind:     global_buffer
      - .offset:         32
        .size:           8
        .value_kind:     by_value
      - .offset:         40
        .size:           8
        .value_kind:     by_value
      - .offset:         48
        .size:           8
        .value_kind:     by_value
      - .address_space:  global
        .offset:         56
        .size:           8
        .value_kind:     global_buffer
      - .offset:         64
        .size:           8
        .value_kind:     by_value
      - .offset:         72
        .size:           8
        .value_kind:     by_value
      - .offset:         80
        .size:           8
        .value_kind:     by_value
      - .offset:         88
        .size:           4
        .value_kind:     by_value
    .group_segment_fixed_size: 0
    .kernarg_segment_align: 8
    .kernarg_segment_size: 92
    .language:       OpenCL C
    .language_version:
      - 2
      - 0
    .max_flat_workgroup_size: 256
    .name:           _ZL27rocblas_geam_inplace_deviceILi16ELi16EfPKfPfEv18rocblas_operation_iiT1_S4_T2_lllT3_llli
    .private_segment_fixed_size: 0
    .sgpr_count:     33
    .sgpr_spill_count: 0
    .symbol:         _ZL27rocblas_geam_inplace_deviceILi16ELi16EfPKfPfEv18rocblas_operation_iiT1_S4_T2_lllT3_llli.kd
    .uniform_work_group_size: 1
    .uses_dynamic_stack: false
    .vgpr_count:     10
    .vgpr_spill_count: 0
    .wavefront_size: 32
  - .args:
      - .offset:         0
        .size:           4
        .value_kind:     by_value
      - .offset:         4
        .size:           4
        .value_kind:     by_value
      - .offset:         8
        .size:           4
        .value_kind:     by_value
      - .address_space:  global
        .offset:         16
        .size:           8
        .value_kind:     global_buffer
      - .address_space:  global
        .offset:         24
        .size:           8
        .value_kind:     global_buffer
      - .address_space:  global
        .offset:         32
        .size:           8
        .value_kind:     global_buffer
      - .offset:         40
        .size:           8
        .value_kind:     by_value
      - .offset:         48
        .size:           8
        .value_kind:     by_value
      - .offset:         56
        .size:           8
        .value_kind:     by_value
      - .address_space:  global
        .offset:         64
        .size:           8
        .value_kind:     global_buffer
      - .offset:         72
        .size:           8
        .value_kind:     by_value
      - .offset:         80
        .size:           8
        .value_kind:     by_value
      - .offset:         88
        .size:           8
        .value_kind:     by_value
      - .offset:         96
        .size:           4
        .value_kind:     by_value
    .group_segment_fixed_size: 0
    .kernarg_segment_align: 8
    .kernarg_segment_size: 100
    .language:       OpenCL C
    .language_version:
      - 2
      - 0
    .max_flat_workgroup_size: 256
    .name:           _ZL27rocblas_geam_inplace_deviceILi16ELi16EPKfS1_PfEv18rocblas_operation_iiT1_S4_T2_lllT3_llli
    .private_segment_fixed_size: 0
    .sgpr_count:     33
    .sgpr_spill_count: 0
    .symbol:         _ZL27rocblas_geam_inplace_deviceILi16ELi16EPKfS1_PfEv18rocblas_operation_iiT1_S4_T2_lllT3_llli.kd
    .uniform_work_group_size: 1
    .uses_dynamic_stack: false
    .vgpr_count:     10
    .vgpr_spill_count: 0
    .wavefront_size: 32
  - .args:
      - .offset:         0
        .size:           8
        .value_kind:     by_value
      - .offset:         8
        .size:           4
        .value_kind:     by_value
      - .address_space:  global
        .offset:         16
        .size:           8
        .value_kind:     global_buffer
      - .offset:         24
        .size:           8
        .value_kind:     by_value
      - .offset:         32
        .size:           8
        .value_kind:     by_value
      - .address_space:  global
        .offset:         40
        .size:           8
        .value_kind:     global_buffer
      - .offset:         48
        .size:           8
        .value_kind:     by_value
      - .offset:         56
        .size:           8
        .value_kind:     by_value
      - .offset:         64
        .size:           4
        .value_kind:     by_value
      - .offset:         72
        .size:           4
        .value_kind:     hidden_block_count_x
      - .offset:         76
        .size:           4
        .value_kind:     hidden_block_count_y
      - .offset:         80
        .size:           4
        .value_kind:     hidden_block_count_z
      - .offset:         84
        .size:           2
        .value_kind:     hidden_group_size_x
      - .offset:         86
        .size:           2
        .value_kind:     hidden_group_size_y
      - .offset:         88
        .size:           2
        .value_kind:     hidden_group_size_z
      - .offset:         90
        .size:           2
        .value_kind:     hidden_remainder_x
      - .offset:         92
        .size:           2
        .value_kind:     hidden_remainder_y
      - .offset:         94
        .size:           2
        .value_kind:     hidden_remainder_z
      - .offset:         112
        .size:           8
        .value_kind:     hidden_global_offset_x
      - .offset:         120
        .size:           8
        .value_kind:     hidden_global_offset_y
      - .offset:         128
        .size:           8
        .value_kind:     hidden_global_offset_z
      - .offset:         136
        .size:           2
        .value_kind:     hidden_grid_dims
    .group_segment_fixed_size: 0
    .kernarg_segment_align: 8
    .kernarg_segment_size: 328
    .language:       OpenCL C
    .language_version:
      - 2
      - 0
    .max_flat_workgroup_size: 256
    .name:           _ZL30rocblas_geam_1D_2matrix_deviceILi256EfPKfPfEvmT0_T1_llT2_lli
    .private_segment_fixed_size: 0
    .sgpr_count:     25
    .sgpr_spill_count: 0
    .symbol:         _ZL30rocblas_geam_1D_2matrix_deviceILi256EfPKfPfEvmT0_T1_llT2_lli.kd
    .uniform_work_group_size: 1
    .uses_dynamic_stack: false
    .vgpr_count:     8
    .vgpr_spill_count: 0
    .wavefront_size: 32
  - .args:
      - .offset:         0
        .size:           4
        .value_kind:     by_value
      - .offset:         4
        .size:           4
        .value_kind:     by_value
      - .offset:         8
        .size:           4
        .value_kind:     by_value
      - .offset:         12
        .size:           4
        .value_kind:     by_value
      - .address_space:  global
        .offset:         16
        .size:           8
        .value_kind:     global_buffer
      - .offset:         24
        .size:           8
        .value_kind:     by_value
      - .offset:         32
        .size:           8
        .value_kind:     by_value
      - .offset:         40
        .size:           8
        .value_kind:     by_value
      - .address_space:  global
        .offset:         48
        .size:           8
        .value_kind:     global_buffer
      - .offset:         56
        .size:           8
        .value_kind:     by_value
      - .offset:         64
        .size:           8
        .value_kind:     by_value
      - .offset:         72
        .size:           8
        .value_kind:     by_value
      - .offset:         80
        .size:           4
        .value_kind:     by_value
    .group_segment_fixed_size: 0
    .kernarg_segment_align: 8
    .kernarg_segment_size: 84
    .language:       OpenCL C
    .language_version:
      - 2
      - 0
    .max_flat_workgroup_size: 256
    .name:           _ZL27rocblas_geam_2matrix_deviceILi16ELi16EfPKfPfEv18rocblas_operation_iiT1_T2_lllT3_llli
    .private_segment_fixed_size: 0
    .sgpr_count:     31
    .sgpr_spill_count: 0
    .symbol:         _ZL27rocblas_geam_2matrix_deviceILi16ELi16EfPKfPfEv18rocblas_operation_iiT1_T2_lllT3_llli.kd
    .uniform_work_group_size: 1
    .uses_dynamic_stack: false
    .vgpr_count:     10
    .vgpr_spill_count: 0
    .wavefront_size: 32
  - .args:
      - .offset:         0
        .size:           8
        .value_kind:     by_value
      - .offset:         8
        .size:           4
        .value_kind:     by_value
      - .address_space:  global
        .offset:         16
        .size:           8
        .value_kind:     global_buffer
      - .offset:         24
        .size:           8
        .value_kind:     by_value
      - .offset:         32
        .size:           8
        .value_kind:     by_value
      - .offset:         40
        .size:           4
        .value_kind:     by_value
      - .address_space:  global
        .offset:         48
        .size:           8
        .value_kind:     global_buffer
      - .offset:         56
        .size:           8
        .value_kind:     by_value
      - .offset:         64
        .size:           8
        .value_kind:     by_value
      - .address_space:  global
        .offset:         72
        .size:           8
        .value_kind:     global_buffer
      - .offset:         80
        .size:           8
        .value_kind:     by_value
      - .offset:         88
        .size:           8
        .value_kind:     by_value
      - .offset:         96
        .size:           4
        .value_kind:     by_value
      - .offset:         104
        .size:           4
        .value_kind:     hidden_block_count_x
      - .offset:         108
        .size:           4
        .value_kind:     hidden_block_count_y
      - .offset:         112
        .size:           4
        .value_kind:     hidden_block_count_z
      - .offset:         116
        .size:           2
        .value_kind:     hidden_group_size_x
      - .offset:         118
        .size:           2
        .value_kind:     hidden_group_size_y
      - .offset:         120
        .size:           2
        .value_kind:     hidden_group_size_z
      - .offset:         122
        .size:           2
        .value_kind:     hidden_remainder_x
      - .offset:         124
        .size:           2
        .value_kind:     hidden_remainder_y
      - .offset:         126
        .size:           2
        .value_kind:     hidden_remainder_z
      - .offset:         144
        .size:           8
        .value_kind:     hidden_global_offset_x
      - .offset:         152
        .size:           8
        .value_kind:     hidden_global_offset_y
      - .offset:         160
        .size:           8
        .value_kind:     hidden_global_offset_z
      - .offset:         168
        .size:           2
        .value_kind:     hidden_grid_dims
    .group_segment_fixed_size: 0
    .kernarg_segment_align: 8
    .kernarg_segment_size: 360
    .language:       OpenCL C
    .language_version:
      - 2
      - 0
    .max_flat_workgroup_size: 256
    .name:           _ZL22rocblas_geam_1D_deviceILi256EfPKfPfEvmT0_T1_llS3_S4_llT2_lli
    .private_segment_fixed_size: 0
    .sgpr_count:     32
    .sgpr_spill_count: 0
    .symbol:         _ZL22rocblas_geam_1D_deviceILi256EfPKfPfEvmT0_T1_llS3_S4_llT2_lli.kd
    .uniform_work_group_size: 1
    .uses_dynamic_stack: false
    .vgpr_count:     12
    .vgpr_spill_count: 0
    .wavefront_size: 32
  - .args:
      - .offset:         0
        .size:           8
        .value_kind:     by_value
      - .address_space:  global
        .offset:         8
        .size:           8
        .value_kind:     global_buffer
      - .address_space:  global
        .offset:         16
        .size:           8
        .value_kind:     global_buffer
      - .offset:         24
        .size:           8
        .value_kind:     by_value
      - .offset:         32
        .size:           8
        .value_kind:     by_value
      - .address_space:  global
        .offset:         40
        .size:           8
        .value_kind:     global_buffer
      - .address_space:  global
        .offset:         48
        .size:           8
        .value_kind:     global_buffer
      - .offset:         56
        .size:           8
        .value_kind:     by_value
      - .offset:         64
        .size:           8
        .value_kind:     by_value
      - .address_space:  global
        .offset:         72
        .size:           8
        .value_kind:     global_buffer
      - .offset:         80
        .size:           8
        .value_kind:     by_value
      - .offset:         88
        .size:           8
        .value_kind:     by_value
      - .offset:         96
        .size:           4
        .value_kind:     by_value
      - .offset:         104
        .size:           4
        .value_kind:     hidden_block_count_x
      - .offset:         108
        .size:           4
        .value_kind:     hidden_block_count_y
      - .offset:         112
        .size:           4
        .value_kind:     hidden_block_count_z
      - .offset:         116
        .size:           2
        .value_kind:     hidden_group_size_x
      - .offset:         118
        .size:           2
        .value_kind:     hidden_group_size_y
      - .offset:         120
        .size:           2
        .value_kind:     hidden_group_size_z
      - .offset:         122
        .size:           2
        .value_kind:     hidden_remainder_x
      - .offset:         124
        .size:           2
        .value_kind:     hidden_remainder_y
      - .offset:         126
        .size:           2
        .value_kind:     hidden_remainder_z
      - .offset:         144
        .size:           8
        .value_kind:     hidden_global_offset_x
      - .offset:         152
        .size:           8
        .value_kind:     hidden_global_offset_y
      - .offset:         160
        .size:           8
        .value_kind:     hidden_global_offset_z
      - .offset:         168
        .size:           2
        .value_kind:     hidden_grid_dims
    .group_segment_fixed_size: 0
    .kernarg_segment_align: 8
    .kernarg_segment_size: 360
    .language:       OpenCL C
    .language_version:
      - 2
      - 0
    .max_flat_workgroup_size: 256
    .name:           _ZL22rocblas_geam_1D_deviceILi256EPKfS1_PfEvmT0_T1_llS3_S4_llT2_lli
    .private_segment_fixed_size: 0
    .sgpr_count:     34
    .sgpr_spill_count: 0
    .symbol:         _ZL22rocblas_geam_1D_deviceILi256EPKfS1_PfEvmT0_T1_llS3_S4_llT2_lli.kd
    .uniform_work_group_size: 1
    .uses_dynamic_stack: false
    .vgpr_count:     12
    .vgpr_spill_count: 0
    .wavefront_size: 32
  - .args:
      - .offset:         0
        .size:           4
        .value_kind:     by_value
      - .offset:         4
        .size:           4
        .value_kind:     by_value
      - .offset:         8
        .size:           4
        .value_kind:     by_value
      - .offset:         12
        .size:           4
        .value_kind:     by_value
      - .offset:         16
        .size:           4
        .value_kind:     by_value
      - .address_space:  global
        .offset:         24
        .size:           8
        .value_kind:     global_buffer
      - .offset:         32
        .size:           8
        .value_kind:     by_value
      - .offset:         40
        .size:           8
        .value_kind:     by_value
      - .offset:         48
        .size:           8
        .value_kind:     by_value
      - .offset:         56
        .size:           4
        .value_kind:     by_value
      - .address_space:  global
        .offset:         64
        .size:           8
        .value_kind:     global_buffer
      - .offset:         72
        .size:           8
        .value_kind:     by_value
      - .offset:         80
        .size:           8
        .value_kind:     by_value
      - .offset:         88
        .size:           8
        .value_kind:     by_value
      - .address_space:  global
        .offset:         96
        .size:           8
        .value_kind:     global_buffer
      - .offset:         104
        .size:           8
        .value_kind:     by_value
      - .offset:         112
        .size:           8
        .value_kind:     by_value
      - .offset:         120
        .size:           8
        .value_kind:     by_value
      - .offset:         128
        .size:           4
        .value_kind:     by_value
    .group_segment_fixed_size: 0
    .kernarg_segment_align: 8
    .kernarg_segment_size: 132
    .language:       OpenCL C
    .language_version:
      - 2
      - 0
    .max_flat_workgroup_size: 256
    .name:           _ZL19rocblas_geam_deviceILi16ELi16EfPKfPfEv18rocblas_operation_S3_iiT1_T2_lllS4_S5_lllT3_llli
    .private_segment_fixed_size: 0
    .sgpr_count:     43
    .sgpr_spill_count: 0
    .symbol:         _ZL19rocblas_geam_deviceILi16ELi16EfPKfPfEv18rocblas_operation_S3_iiT1_T2_lllS4_S5_lllT3_llli.kd
    .uniform_work_group_size: 1
    .uses_dynamic_stack: false
    .vgpr_count:     14
    .vgpr_spill_count: 0
    .wavefront_size: 32
  - .args:
      - .offset:         0
        .size:           4
        .value_kind:     by_value
      - .offset:         4
        .size:           4
        .value_kind:     by_value
      - .offset:         8
        .size:           4
        .value_kind:     by_value
      - .offset:         12
        .size:           4
        .value_kind:     by_value
      - .address_space:  global
        .offset:         16
        .size:           8
        .value_kind:     global_buffer
      - .address_space:  global
        .offset:         24
        .size:           8
        .value_kind:     global_buffer
      - .offset:         32
        .size:           8
        .value_kind:     by_value
      - .offset:         40
        .size:           8
        .value_kind:     by_value
      - .offset:         48
        .size:           8
        .value_kind:     by_value
      - .address_space:  global
        .offset:         56
        .size:           8
        .value_kind:     global_buffer
      - .address_space:  global
        .offset:         64
        .size:           8
        .value_kind:     global_buffer
      - .offset:         72
        .size:           8
        .value_kind:     by_value
      - .offset:         80
        .size:           8
        .value_kind:     by_value
      - .offset:         88
        .size:           8
        .value_kind:     by_value
      - .address_space:  global
        .offset:         96
        .size:           8
        .value_kind:     global_buffer
      - .offset:         104
        .size:           8
        .value_kind:     by_value
      - .offset:         112
        .size:           8
        .value_kind:     by_value
      - .offset:         120
        .size:           8
        .value_kind:     by_value
      - .offset:         128
        .size:           4
        .value_kind:     by_value
    .group_segment_fixed_size: 0
    .kernarg_segment_align: 8
    .kernarg_segment_size: 132
    .language:       OpenCL C
    .language_version:
      - 2
      - 0
    .max_flat_workgroup_size: 256
    .name:           _ZL19rocblas_geam_deviceILi16ELi16EPKfS1_PfEv18rocblas_operation_S3_iiT1_T2_lllS4_S5_lllT3_llli
    .private_segment_fixed_size: 0
    .sgpr_count:     44
    .sgpr_spill_count: 0
    .symbol:         _ZL19rocblas_geam_deviceILi16ELi16EPKfS1_PfEv18rocblas_operation_S3_iiT1_T2_lllS4_S5_lllT3_llli.kd
    .uniform_work_group_size: 1
    .uses_dynamic_stack: false
    .vgpr_count:     14
    .vgpr_spill_count: 0
    .wavefront_size: 32
  - .args:
      - .offset:         0
        .size:           4
        .value_kind:     by_value
      - .offset:         4
        .size:           4
        .value_kind:     by_value
      - .address_space:  global
        .offset:         8
        .size:           8
        .value_kind:     global_buffer
      - .offset:         16
        .size:           8
        .value_kind:     by_value
      - .offset:         24
        .size:           8
        .value_kind:     by_value
      - .offset:         32
        .size:           8
        .value_kind:     by_value
      - .offset:         40
        .size:           4
        .value_kind:     by_value
    .group_segment_fixed_size: 0
    .kernarg_segment_align: 8
    .kernarg_segment_size: 44
    .language:       OpenCL C
    .language_version:
      - 2
      - 0
    .max_flat_workgroup_size: 256
    .name:           _ZL31rocblas_geam_zero_matrix_deviceILi16ELi16EPdEviiT1_llli
    .private_segment_fixed_size: 0
    .sgpr_count:     22
    .sgpr_spill_count: 0
    .symbol:         _ZL31rocblas_geam_zero_matrix_deviceILi16ELi16EPdEviiT1_llli.kd
    .uniform_work_group_size: 1
    .uses_dynamic_stack: false
    .vgpr_count:     8
    .vgpr_spill_count: 0
    .wavefront_size: 32
  - .args:
      - .offset:         0
        .size:           4
        .value_kind:     by_value
      - .offset:         4
        .size:           4
        .value_kind:     by_value
      - .offset:         8
        .size:           4
        .value_kind:     by_value
      - .offset:         16
        .size:           8
        .value_kind:     by_value
      - .offset:         24
        .size:           8
        .value_kind:     by_value
      - .address_space:  global
        .offset:         32
        .size:           8
        .value_kind:     global_buffer
      - .offset:         40
        .size:           8
        .value_kind:     by_value
      - .offset:         48
        .size:           8
        .value_kind:     by_value
      - .offset:         56
        .size:           8
        .value_kind:     by_value
      - .address_space:  global
        .offset:         64
        .size:           8
        .value_kind:     global_buffer
      - .offset:         72
        .size:           8
        .value_kind:     by_value
      - .offset:         80
        .size:           8
        .value_kind:     by_value
      - .offset:         88
        .size:           8
        .value_kind:     by_value
      - .offset:         96
        .size:           4
        .value_kind:     by_value
    .group_segment_fixed_size: 0
    .kernarg_segment_align: 8
    .kernarg_segment_size: 100
    .language:       OpenCL C
    .language_version:
      - 2
      - 0
    .max_flat_workgroup_size: 256
    .name:           _ZL27rocblas_geam_inplace_deviceILi16ELi16EdPKdPdEv18rocblas_operation_iiT1_S4_T2_lllT3_llli
    .private_segment_fixed_size: 0
    .sgpr_count:     33
    .sgpr_spill_count: 0
    .symbol:         _ZL27rocblas_geam_inplace_deviceILi16ELi16EdPKdPdEv18rocblas_operation_iiT1_S4_T2_lllT3_llli.kd
    .uniform_work_group_size: 1
    .uses_dynamic_stack: false
    .vgpr_count:     10
    .vgpr_spill_count: 0
    .wavefront_size: 32
  - .args:
      - .offset:         0
        .size:           4
        .value_kind:     by_value
      - .offset:         4
        .size:           4
        .value_kind:     by_value
      - .offset:         8
        .size:           4
        .value_kind:     by_value
      - .address_space:  global
        .offset:         16
        .size:           8
        .value_kind:     global_buffer
      - .address_space:  global
        .offset:         24
        .size:           8
        .value_kind:     global_buffer
      - .address_space:  global
        .offset:         32
        .size:           8
        .value_kind:     global_buffer
      - .offset:         40
        .size:           8
        .value_kind:     by_value
      - .offset:         48
        .size:           8
        .value_kind:     by_value
      - .offset:         56
        .size:           8
        .value_kind:     by_value
      - .address_space:  global
        .offset:         64
        .size:           8
        .value_kind:     global_buffer
      - .offset:         72
        .size:           8
        .value_kind:     by_value
      - .offset:         80
        .size:           8
        .value_kind:     by_value
      - .offset:         88
        .size:           8
        .value_kind:     by_value
      - .offset:         96
        .size:           4
        .value_kind:     by_value
    .group_segment_fixed_size: 0
    .kernarg_segment_align: 8
    .kernarg_segment_size: 100
    .language:       OpenCL C
    .language_version:
      - 2
      - 0
    .max_flat_workgroup_size: 256
    .name:           _ZL27rocblas_geam_inplace_deviceILi16ELi16EPKdS1_PdEv18rocblas_operation_iiT1_S4_T2_lllT3_llli
    .private_segment_fixed_size: 0
    .sgpr_count:     33
    .sgpr_spill_count: 0
    .symbol:         _ZL27rocblas_geam_inplace_deviceILi16ELi16EPKdS1_PdEv18rocblas_operation_iiT1_S4_T2_lllT3_llli.kd
    .uniform_work_group_size: 1
    .uses_dynamic_stack: false
    .vgpr_count:     14
    .vgpr_spill_count: 0
    .wavefront_size: 32
  - .args:
      - .offset:         0
        .size:           8
        .value_kind:     by_value
      - .offset:         8
        .size:           8
        .value_kind:     by_value
      - .address_space:  global
        .offset:         16
        .size:           8
        .value_kind:     global_buffer
      - .offset:         24
        .size:           8
        .value_kind:     by_value
      - .offset:         32
        .size:           8
        .value_kind:     by_value
      - .address_space:  global
        .offset:         40
        .size:           8
        .value_kind:     global_buffer
      - .offset:         48
        .size:           8
        .value_kind:     by_value
      - .offset:         56
        .size:           8
        .value_kind:     by_value
      - .offset:         64
        .size:           4
        .value_kind:     by_value
      - .offset:         72
        .size:           4
        .value_kind:     hidden_block_count_x
      - .offset:         76
        .size:           4
        .value_kind:     hidden_block_count_y
      - .offset:         80
        .size:           4
        .value_kind:     hidden_block_count_z
      - .offset:         84
        .size:           2
        .value_kind:     hidden_group_size_x
      - .offset:         86
        .size:           2
        .value_kind:     hidden_group_size_y
      - .offset:         88
        .size:           2
        .value_kind:     hidden_group_size_z
      - .offset:         90
        .size:           2
        .value_kind:     hidden_remainder_x
      - .offset:         92
        .size:           2
        .value_kind:     hidden_remainder_y
      - .offset:         94
        .size:           2
        .value_kind:     hidden_remainder_z
      - .offset:         112
        .size:           8
        .value_kind:     hidden_global_offset_x
      - .offset:         120
        .size:           8
        .value_kind:     hidden_global_offset_y
      - .offset:         128
        .size:           8
        .value_kind:     hidden_global_offset_z
      - .offset:         136
        .size:           2
        .value_kind:     hidden_grid_dims
    .group_segment_fixed_size: 0
    .kernarg_segment_align: 8
    .kernarg_segment_size: 328
    .language:       OpenCL C
    .language_version:
      - 2
      - 0
    .max_flat_workgroup_size: 256
    .name:           _ZL30rocblas_geam_1D_2matrix_deviceILi256EdPKdPdEvmT0_T1_llT2_lli
    .private_segment_fixed_size: 0
    .sgpr_count:     26
    .sgpr_spill_count: 0
    .symbol:         _ZL30rocblas_geam_1D_2matrix_deviceILi256EdPKdPdEvmT0_T1_llT2_lli.kd
    .uniform_work_group_size: 1
    .uses_dynamic_stack: false
    .vgpr_count:     8
    .vgpr_spill_count: 0
    .wavefront_size: 32
  - .args:
      - .offset:         0
        .size:           4
        .value_kind:     by_value
      - .offset:         4
        .size:           4
        .value_kind:     by_value
      - .offset:         8
        .size:           4
        .value_kind:     by_value
      - .offset:         16
        .size:           8
        .value_kind:     by_value
      - .address_space:  global
        .offset:         24
        .size:           8
        .value_kind:     global_buffer
      - .offset:         32
        .size:           8
        .value_kind:     by_value
      - .offset:         40
        .size:           8
        .value_kind:     by_value
      - .offset:         48
        .size:           8
        .value_kind:     by_value
      - .address_space:  global
        .offset:         56
        .size:           8
        .value_kind:     global_buffer
      - .offset:         64
        .size:           8
        .value_kind:     by_value
      - .offset:         72
        .size:           8
        .value_kind:     by_value
      - .offset:         80
        .size:           8
        .value_kind:     by_value
      - .offset:         88
        .size:           4
        .value_kind:     by_value
    .group_segment_fixed_size: 0
    .kernarg_segment_align: 8
    .kernarg_segment_size: 92
    .language:       OpenCL C
    .language_version:
      - 2
      - 0
    .max_flat_workgroup_size: 256
    .name:           _ZL27rocblas_geam_2matrix_deviceILi16ELi16EdPKdPdEv18rocblas_operation_iiT1_T2_lllT3_llli
    .private_segment_fixed_size: 0
    .sgpr_count:     32
    .sgpr_spill_count: 0
    .symbol:         _ZL27rocblas_geam_2matrix_deviceILi16ELi16EdPKdPdEv18rocblas_operation_iiT1_T2_lllT3_llli.kd
    .uniform_work_group_size: 1
    .uses_dynamic_stack: false
    .vgpr_count:     10
    .vgpr_spill_count: 0
    .wavefront_size: 32
  - .args:
      - .offset:         0
        .size:           8
        .value_kind:     by_value
      - .offset:         8
        .size:           8
        .value_kind:     by_value
      - .address_space:  global
        .offset:         16
        .size:           8
        .value_kind:     global_buffer
      - .offset:         24
        .size:           8
        .value_kind:     by_value
      - .offset:         32
        .size:           8
        .value_kind:     by_value
      - .offset:         40
        .size:           8
        .value_kind:     by_value
      - .address_space:  global
        .offset:         48
        .size:           8
        .value_kind:     global_buffer
      - .offset:         56
        .size:           8
        .value_kind:     by_value
      - .offset:         64
        .size:           8
        .value_kind:     by_value
      - .address_space:  global
        .offset:         72
        .size:           8
        .value_kind:     global_buffer
      - .offset:         80
        .size:           8
        .value_kind:     by_value
      - .offset:         88
        .size:           8
        .value_kind:     by_value
      - .offset:         96
        .size:           4
        .value_kind:     by_value
      - .offset:         104
        .size:           4
        .value_kind:     hidden_block_count_x
      - .offset:         108
        .size:           4
        .value_kind:     hidden_block_count_y
      - .offset:         112
        .size:           4
        .value_kind:     hidden_block_count_z
      - .offset:         116
        .size:           2
        .value_kind:     hidden_group_size_x
      - .offset:         118
        .size:           2
        .value_kind:     hidden_group_size_y
      - .offset:         120
        .size:           2
        .value_kind:     hidden_group_size_z
      - .offset:         122
        .size:           2
        .value_kind:     hidden_remainder_x
      - .offset:         124
        .size:           2
        .value_kind:     hidden_remainder_y
      - .offset:         126
        .size:           2
        .value_kind:     hidden_remainder_z
      - .offset:         144
        .size:           8
        .value_kind:     hidden_global_offset_x
      - .offset:         152
        .size:           8
        .value_kind:     hidden_global_offset_y
      - .offset:         160
        .size:           8
        .value_kind:     hidden_global_offset_z
      - .offset:         168
        .size:           2
        .value_kind:     hidden_grid_dims
    .group_segment_fixed_size: 0
    .kernarg_segment_align: 8
    .kernarg_segment_size: 360
    .language:       OpenCL C
    .language_version:
      - 2
      - 0
    .max_flat_workgroup_size: 256
    .name:           _ZL22rocblas_geam_1D_deviceILi256EdPKdPdEvmT0_T1_llS3_S4_llT2_lli
    .private_segment_fixed_size: 0
    .sgpr_count:     36
    .sgpr_spill_count: 0
    .symbol:         _ZL22rocblas_geam_1D_deviceILi256EdPKdPdEvmT0_T1_llS3_S4_llT2_lli.kd
    .uniform_work_group_size: 1
    .uses_dynamic_stack: false
    .vgpr_count:     12
    .vgpr_spill_count: 0
    .wavefront_size: 32
  - .args:
      - .offset:         0
        .size:           8
        .value_kind:     by_value
      - .address_space:  global
        .offset:         8
        .size:           8
        .value_kind:     global_buffer
      - .address_space:  global
        .offset:         16
        .size:           8
        .value_kind:     global_buffer
      - .offset:         24
        .size:           8
        .value_kind:     by_value
      - .offset:         32
        .size:           8
        .value_kind:     by_value
      - .address_space:  global
        .offset:         40
        .size:           8
        .value_kind:     global_buffer
      - .address_space:  global
        .offset:         48
        .size:           8
        .value_kind:     global_buffer
      - .offset:         56
        .size:           8
        .value_kind:     by_value
      - .offset:         64
        .size:           8
        .value_kind:     by_value
      - .address_space:  global
        .offset:         72
        .size:           8
        .value_kind:     global_buffer
      - .offset:         80
        .size:           8
        .value_kind:     by_value
      - .offset:         88
        .size:           8
        .value_kind:     by_value
      - .offset:         96
        .size:           4
        .value_kind:     by_value
      - .offset:         104
        .size:           4
        .value_kind:     hidden_block_count_x
      - .offset:         108
        .size:           4
        .value_kind:     hidden_block_count_y
      - .offset:         112
        .size:           4
        .value_kind:     hidden_block_count_z
      - .offset:         116
        .size:           2
        .value_kind:     hidden_group_size_x
      - .offset:         118
        .size:           2
        .value_kind:     hidden_group_size_y
      - .offset:         120
        .size:           2
        .value_kind:     hidden_group_size_z
      - .offset:         122
        .size:           2
        .value_kind:     hidden_remainder_x
      - .offset:         124
        .size:           2
        .value_kind:     hidden_remainder_y
      - .offset:         126
        .size:           2
        .value_kind:     hidden_remainder_z
      - .offset:         144
        .size:           8
        .value_kind:     hidden_global_offset_x
      - .offset:         152
        .size:           8
        .value_kind:     hidden_global_offset_y
      - .offset:         160
        .size:           8
        .value_kind:     hidden_global_offset_z
      - .offset:         168
        .size:           2
        .value_kind:     hidden_grid_dims
    .group_segment_fixed_size: 0
    .kernarg_segment_align: 8
    .kernarg_segment_size: 360
    .language:       OpenCL C
    .language_version:
      - 2
      - 0
    .max_flat_workgroup_size: 256
    .name:           _ZL22rocblas_geam_1D_deviceILi256EPKdS1_PdEvmT0_T1_llS3_S4_llT2_lli
    .private_segment_fixed_size: 0
    .sgpr_count:     34
    .sgpr_spill_count: 0
    .symbol:         _ZL22rocblas_geam_1D_deviceILi256EPKdS1_PdEvmT0_T1_llS3_S4_llT2_lli.kd
    .uniform_work_group_size: 1
    .uses_dynamic_stack: false
    .vgpr_count:     16
    .vgpr_spill_count: 0
    .wavefront_size: 32
  - .args:
      - .offset:         0
        .size:           4
        .value_kind:     by_value
      - .offset:         4
        .size:           4
        .value_kind:     by_value
      - .offset:         8
        .size:           4
        .value_kind:     by_value
      - .offset:         12
        .size:           4
        .value_kind:     by_value
      - .offset:         16
        .size:           8
        .value_kind:     by_value
      - .address_space:  global
        .offset:         24
        .size:           8
        .value_kind:     global_buffer
      - .offset:         32
        .size:           8
        .value_kind:     by_value
      - .offset:         40
        .size:           8
        .value_kind:     by_value
      - .offset:         48
        .size:           8
        .value_kind:     by_value
      - .offset:         56
        .size:           8
        .value_kind:     by_value
      - .address_space:  global
        .offset:         64
        .size:           8
        .value_kind:     global_buffer
      - .offset:         72
        .size:           8
        .value_kind:     by_value
      - .offset:         80
        .size:           8
        .value_kind:     by_value
      - .offset:         88
        .size:           8
        .value_kind:     by_value
      - .address_space:  global
        .offset:         96
        .size:           8
        .value_kind:     global_buffer
      - .offset:         104
        .size:           8
        .value_kind:     by_value
      - .offset:         112
        .size:           8
        .value_kind:     by_value
      - .offset:         120
        .size:           8
        .value_kind:     by_value
      - .offset:         128
        .size:           4
        .value_kind:     by_value
    .group_segment_fixed_size: 0
    .kernarg_segment_align: 8
    .kernarg_segment_size: 132
    .language:       OpenCL C
    .language_version:
      - 2
      - 0
    .max_flat_workgroup_size: 256
    .name:           _ZL19rocblas_geam_deviceILi16ELi16EdPKdPdEv18rocblas_operation_S3_iiT1_T2_lllS4_S5_lllT3_llli
    .private_segment_fixed_size: 0
    .sgpr_count:     44
    .sgpr_spill_count: 0
    .symbol:         _ZL19rocblas_geam_deviceILi16ELi16EdPKdPdEv18rocblas_operation_S3_iiT1_T2_lllS4_S5_lllT3_llli.kd
    .uniform_work_group_size: 1
    .uses_dynamic_stack: false
    .vgpr_count:     14
    .vgpr_spill_count: 0
    .wavefront_size: 32
  - .args:
      - .offset:         0
        .size:           4
        .value_kind:     by_value
      - .offset:         4
        .size:           4
        .value_kind:     by_value
      - .offset:         8
        .size:           4
        .value_kind:     by_value
      - .offset:         12
        .size:           4
        .value_kind:     by_value
      - .address_space:  global
        .offset:         16
        .size:           8
        .value_kind:     global_buffer
      - .address_space:  global
        .offset:         24
        .size:           8
        .value_kind:     global_buffer
      - .offset:         32
        .size:           8
        .value_kind:     by_value
      - .offset:         40
        .size:           8
        .value_kind:     by_value
      - .offset:         48
        .size:           8
        .value_kind:     by_value
      - .address_space:  global
        .offset:         56
        .size:           8
        .value_kind:     global_buffer
      - .address_space:  global
        .offset:         64
        .size:           8
        .value_kind:     global_buffer
      - .offset:         72
        .size:           8
        .value_kind:     by_value
      - .offset:         80
        .size:           8
        .value_kind:     by_value
      - .offset:         88
        .size:           8
        .value_kind:     by_value
      - .address_space:  global
        .offset:         96
        .size:           8
        .value_kind:     global_buffer
      - .offset:         104
        .size:           8
        .value_kind:     by_value
      - .offset:         112
        .size:           8
        .value_kind:     by_value
      - .offset:         120
        .size:           8
        .value_kind:     by_value
      - .offset:         128
        .size:           4
        .value_kind:     by_value
    .group_segment_fixed_size: 0
    .kernarg_segment_align: 8
    .kernarg_segment_size: 132
    .language:       OpenCL C
    .language_version:
      - 2
      - 0
    .max_flat_workgroup_size: 256
    .name:           _ZL19rocblas_geam_deviceILi16ELi16EPKdS1_PdEv18rocblas_operation_S3_iiT1_T2_lllS4_S5_lllT3_llli
    .private_segment_fixed_size: 0
    .sgpr_count:     44
    .sgpr_spill_count: 0
    .symbol:         _ZL19rocblas_geam_deviceILi16ELi16EPKdS1_PdEv18rocblas_operation_S3_iiT1_T2_lllS4_S5_lllT3_llli.kd
    .uniform_work_group_size: 1
    .uses_dynamic_stack: false
    .vgpr_count:     15
    .vgpr_spill_count: 0
    .wavefront_size: 32
  - .args:
      - .offset:         0
        .size:           4
        .value_kind:     by_value
      - .offset:         4
        .size:           4
        .value_kind:     by_value
      - .address_space:  global
        .offset:         8
        .size:           8
        .value_kind:     global_buffer
      - .offset:         16
        .size:           8
        .value_kind:     by_value
      - .offset:         24
        .size:           8
        .value_kind:     by_value
      - .offset:         32
        .size:           8
        .value_kind:     by_value
      - .offset:         40
        .size:           4
        .value_kind:     by_value
    .group_segment_fixed_size: 0
    .kernarg_segment_align: 8
    .kernarg_segment_size: 44
    .language:       OpenCL C
    .language_version:
      - 2
      - 0
    .max_flat_workgroup_size: 256
    .name:           _ZL31rocblas_geam_zero_matrix_deviceILi16ELi16EP19rocblas_complex_numIfEEviiT1_llli
    .private_segment_fixed_size: 0
    .sgpr_count:     22
    .sgpr_spill_count: 0
    .symbol:         _ZL31rocblas_geam_zero_matrix_deviceILi16ELi16EP19rocblas_complex_numIfEEviiT1_llli.kd
    .uniform_work_group_size: 1
    .uses_dynamic_stack: false
    .vgpr_count:     8
    .vgpr_spill_count: 0
    .wavefront_size: 32
  - .args:
      - .offset:         0
        .size:           4
        .value_kind:     by_value
      - .offset:         4
        .size:           4
        .value_kind:     by_value
      - .offset:         8
        .size:           4
        .value_kind:     by_value
      - .offset:         12
        .size:           8
        .value_kind:     by_value
      - .offset:         20
        .size:           8
        .value_kind:     by_value
      - .address_space:  global
        .offset:         32
        .size:           8
        .value_kind:     global_buffer
      - .offset:         40
        .size:           8
        .value_kind:     by_value
      - .offset:         48
        .size:           8
        .value_kind:     by_value
      - .offset:         56
        .size:           8
        .value_kind:     by_value
      - .address_space:  global
        .offset:         64
        .size:           8
        .value_kind:     global_buffer
      - .offset:         72
        .size:           8
        .value_kind:     by_value
      - .offset:         80
        .size:           8
        .value_kind:     by_value
      - .offset:         88
        .size:           8
        .value_kind:     by_value
      - .offset:         96
        .size:           4
        .value_kind:     by_value
    .group_segment_fixed_size: 0
    .kernarg_segment_align: 8
    .kernarg_segment_size: 100
    .language:       OpenCL C
    .language_version:
      - 2
      - 0
    .max_flat_workgroup_size: 256
    .name:           _ZL27rocblas_geam_inplace_deviceILi16ELi16E19rocblas_complex_numIfEPKS1_PS1_Ev18rocblas_operation_iiT1_S6_T2_lllT3_llli
    .private_segment_fixed_size: 0
    .sgpr_count:     38
    .sgpr_spill_count: 0
    .symbol:         _ZL27rocblas_geam_inplace_deviceILi16ELi16E19rocblas_complex_numIfEPKS1_PS1_Ev18rocblas_operation_iiT1_S6_T2_lllT3_llli.kd
    .uniform_work_group_size: 1
    .uses_dynamic_stack: false
    .vgpr_count:     16
    .vgpr_spill_count: 0
    .wavefront_size: 32
  - .args:
      - .offset:         0
        .size:           4
        .value_kind:     by_value
      - .offset:         4
        .size:           4
        .value_kind:     by_value
      - .offset:         8
        .size:           4
        .value_kind:     by_value
      - .address_space:  global
        .offset:         16
        .size:           8
        .value_kind:     global_buffer
      - .address_space:  global
        .offset:         24
        .size:           8
        .value_kind:     global_buffer
      - .address_space:  global
        .offset:         32
        .size:           8
        .value_kind:     global_buffer
      - .offset:         40
        .size:           8
        .value_kind:     by_value
      - .offset:         48
        .size:           8
        .value_kind:     by_value
      - .offset:         56
        .size:           8
        .value_kind:     by_value
      - .address_space:  global
        .offset:         64
        .size:           8
        .value_kind:     global_buffer
      - .offset:         72
        .size:           8
        .value_kind:     by_value
      - .offset:         80
        .size:           8
        .value_kind:     by_value
      - .offset:         88
        .size:           8
        .value_kind:     by_value
      - .offset:         96
        .size:           4
        .value_kind:     by_value
    .group_segment_fixed_size: 0
    .kernarg_segment_align: 8
    .kernarg_segment_size: 100
    .language:       OpenCL C
    .language_version:
      - 2
      - 0
    .max_flat_workgroup_size: 256
    .name:           _ZL27rocblas_geam_inplace_deviceILi16ELi16EPK19rocblas_complex_numIfES3_PS1_Ev18rocblas_operation_iiT1_S6_T2_lllT3_llli
    .private_segment_fixed_size: 0
    .sgpr_count:     33
    .sgpr_spill_count: 0
    .symbol:         _ZL27rocblas_geam_inplace_deviceILi16ELi16EPK19rocblas_complex_numIfES3_PS1_Ev18rocblas_operation_iiT1_S6_T2_lllT3_llli.kd
    .uniform_work_group_size: 1
    .uses_dynamic_stack: false
    .vgpr_count:     18
    .vgpr_spill_count: 0
    .wavefront_size: 32
  - .args:
      - .offset:         0
        .size:           8
        .value_kind:     by_value
      - .offset:         8
        .size:           8
        .value_kind:     by_value
      - .address_space:  global
        .offset:         16
        .size:           8
        .value_kind:     global_buffer
      - .offset:         24
        .size:           8
        .value_kind:     by_value
      - .offset:         32
        .size:           8
        .value_kind:     by_value
      - .address_space:  global
        .offset:         40
        .size:           8
        .value_kind:     global_buffer
      - .offset:         48
        .size:           8
        .value_kind:     by_value
      - .offset:         56
        .size:           8
        .value_kind:     by_value
      - .offset:         64
        .size:           4
        .value_kind:     by_value
      - .offset:         72
        .size:           4
        .value_kind:     hidden_block_count_x
      - .offset:         76
        .size:           4
        .value_kind:     hidden_block_count_y
      - .offset:         80
        .size:           4
        .value_kind:     hidden_block_count_z
      - .offset:         84
        .size:           2
        .value_kind:     hidden_group_size_x
      - .offset:         86
        .size:           2
        .value_kind:     hidden_group_size_y
      - .offset:         88
        .size:           2
        .value_kind:     hidden_group_size_z
      - .offset:         90
        .size:           2
        .value_kind:     hidden_remainder_x
      - .offset:         92
        .size:           2
        .value_kind:     hidden_remainder_y
      - .offset:         94
        .size:           2
        .value_kind:     hidden_remainder_z
      - .offset:         112
        .size:           8
        .value_kind:     hidden_global_offset_x
      - .offset:         120
        .size:           8
        .value_kind:     hidden_global_offset_y
      - .offset:         128
        .size:           8
        .value_kind:     hidden_global_offset_z
      - .offset:         136
        .size:           2
        .value_kind:     hidden_grid_dims
    .group_segment_fixed_size: 0
    .kernarg_segment_align: 8
    .kernarg_segment_size: 328
    .language:       OpenCL C
    .language_version:
      - 2
      - 0
    .max_flat_workgroup_size: 256
    .name:           _ZL30rocblas_geam_1D_2matrix_deviceILi256E19rocblas_complex_numIfEPKS1_PS1_EvmT0_T1_llT2_lli
    .private_segment_fixed_size: 0
    .sgpr_count:     25
    .sgpr_spill_count: 0
    .symbol:         _ZL30rocblas_geam_1D_2matrix_deviceILi256E19rocblas_complex_numIfEPKS1_PS1_EvmT0_T1_llT2_lli.kd
    .uniform_work_group_size: 1
    .uses_dynamic_stack: false
    .vgpr_count:     16
    .vgpr_spill_count: 0
    .wavefront_size: 32
  - .args:
      - .offset:         0
        .size:           4
        .value_kind:     by_value
      - .offset:         4
        .size:           4
        .value_kind:     by_value
      - .offset:         8
        .size:           4
        .value_kind:     by_value
      - .offset:         12
        .size:           8
        .value_kind:     by_value
      - .address_space:  global
        .offset:         24
        .size:           8
        .value_kind:     global_buffer
      - .offset:         32
        .size:           8
        .value_kind:     by_value
      - .offset:         40
        .size:           8
        .value_kind:     by_value
      - .offset:         48
        .size:           8
        .value_kind:     by_value
      - .address_space:  global
        .offset:         56
        .size:           8
        .value_kind:     global_buffer
      - .offset:         64
        .size:           8
        .value_kind:     by_value
      - .offset:         72
        .size:           8
        .value_kind:     by_value
      - .offset:         80
        .size:           8
        .value_kind:     by_value
      - .offset:         88
        .size:           4
        .value_kind:     by_value
    .group_segment_fixed_size: 0
    .kernarg_segment_align: 8
    .kernarg_segment_size: 92
    .language:       OpenCL C
    .language_version:
      - 2
      - 0
    .max_flat_workgroup_size: 256
    .name:           _ZL27rocblas_geam_2matrix_deviceILi16ELi16E19rocblas_complex_numIfEPKS1_PS1_Ev18rocblas_operation_iiT1_T2_lllT3_llli
    .private_segment_fixed_size: 0
    .sgpr_count:     33
    .sgpr_spill_count: 0
    .symbol:         _ZL27rocblas_geam_2matrix_deviceILi16ELi16E19rocblas_complex_numIfEPKS1_PS1_Ev18rocblas_operation_iiT1_T2_lllT3_llli.kd
    .uniform_work_group_size: 1
    .uses_dynamic_stack: false
    .vgpr_count:     16
    .vgpr_spill_count: 0
    .wavefront_size: 32
  - .args:
      - .offset:         0
        .size:           8
        .value_kind:     by_value
      - .offset:         8
        .size:           8
        .value_kind:     by_value
      - .address_space:  global
        .offset:         16
        .size:           8
        .value_kind:     global_buffer
      - .offset:         24
        .size:           8
        .value_kind:     by_value
      - .offset:         32
        .size:           8
        .value_kind:     by_value
      - .offset:         40
        .size:           8
        .value_kind:     by_value
      - .address_space:  global
        .offset:         48
        .size:           8
        .value_kind:     global_buffer
      - .offset:         56
        .size:           8
        .value_kind:     by_value
      - .offset:         64
        .size:           8
        .value_kind:     by_value
      - .address_space:  global
        .offset:         72
        .size:           8
        .value_kind:     global_buffer
      - .offset:         80
        .size:           8
        .value_kind:     by_value
      - .offset:         88
        .size:           8
        .value_kind:     by_value
      - .offset:         96
        .size:           4
        .value_kind:     by_value
      - .offset:         104
        .size:           4
        .value_kind:     hidden_block_count_x
      - .offset:         108
        .size:           4
        .value_kind:     hidden_block_count_y
      - .offset:         112
        .size:           4
        .value_kind:     hidden_block_count_z
      - .offset:         116
        .size:           2
        .value_kind:     hidden_group_size_x
      - .offset:         118
        .size:           2
        .value_kind:     hidden_group_size_y
      - .offset:         120
        .size:           2
        .value_kind:     hidden_group_size_z
      - .offset:         122
        .size:           2
        .value_kind:     hidden_remainder_x
      - .offset:         124
        .size:           2
        .value_kind:     hidden_remainder_y
      - .offset:         126
        .size:           2
        .value_kind:     hidden_remainder_z
      - .offset:         144
        .size:           8
        .value_kind:     hidden_global_offset_x
      - .offset:         152
        .size:           8
        .value_kind:     hidden_global_offset_y
      - .offset:         160
        .size:           8
        .value_kind:     hidden_global_offset_z
      - .offset:         168
        .size:           2
        .value_kind:     hidden_grid_dims
    .group_segment_fixed_size: 0
    .kernarg_segment_align: 8
    .kernarg_segment_size: 360
    .language:       OpenCL C
    .language_version:
      - 2
      - 0
    .max_flat_workgroup_size: 256
    .name:           _ZL22rocblas_geam_1D_deviceILi256E19rocblas_complex_numIfEPKS1_PS1_EvmT0_T1_llS5_S6_llT2_lli
    .private_segment_fixed_size: 0
    .sgpr_count:     36
    .sgpr_spill_count: 0
    .symbol:         _ZL22rocblas_geam_1D_deviceILi256E19rocblas_complex_numIfEPKS1_PS1_EvmT0_T1_llS5_S6_llT2_lli.kd
    .uniform_work_group_size: 1
    .uses_dynamic_stack: false
    .vgpr_count:     22
    .vgpr_spill_count: 0
    .wavefront_size: 32
  - .args:
      - .offset:         0
        .size:           8
        .value_kind:     by_value
      - .address_space:  global
        .offset:         8
        .size:           8
        .value_kind:     global_buffer
      - .address_space:  global
        .offset:         16
        .size:           8
        .value_kind:     global_buffer
      - .offset:         24
        .size:           8
        .value_kind:     by_value
      - .offset:         32
        .size:           8
        .value_kind:     by_value
      - .address_space:  global
        .offset:         40
        .size:           8
        .value_kind:     global_buffer
      - .address_space:  global
        .offset:         48
        .size:           8
        .value_kind:     global_buffer
      - .offset:         56
        .size:           8
        .value_kind:     by_value
      - .offset:         64
        .size:           8
        .value_kind:     by_value
      - .address_space:  global
        .offset:         72
        .size:           8
        .value_kind:     global_buffer
      - .offset:         80
        .size:           8
        .value_kind:     by_value
      - .offset:         88
        .size:           8
        .value_kind:     by_value
      - .offset:         96
        .size:           4
        .value_kind:     by_value
      - .offset:         104
        .size:           4
        .value_kind:     hidden_block_count_x
      - .offset:         108
        .size:           4
        .value_kind:     hidden_block_count_y
      - .offset:         112
        .size:           4
        .value_kind:     hidden_block_count_z
      - .offset:         116
        .size:           2
        .value_kind:     hidden_group_size_x
      - .offset:         118
        .size:           2
        .value_kind:     hidden_group_size_y
      - .offset:         120
        .size:           2
        .value_kind:     hidden_group_size_z
      - .offset:         122
        .size:           2
        .value_kind:     hidden_remainder_x
      - .offset:         124
        .size:           2
        .value_kind:     hidden_remainder_y
      - .offset:         126
        .size:           2
        .value_kind:     hidden_remainder_z
      - .offset:         144
        .size:           8
        .value_kind:     hidden_global_offset_x
      - .offset:         152
        .size:           8
        .value_kind:     hidden_global_offset_y
      - .offset:         160
        .size:           8
        .value_kind:     hidden_global_offset_z
      - .offset:         168
        .size:           2
        .value_kind:     hidden_grid_dims
    .group_segment_fixed_size: 0
    .kernarg_segment_align: 8
    .kernarg_segment_size: 360
    .language:       OpenCL C
    .language_version:
      - 2
      - 0
    .max_flat_workgroup_size: 256
    .name:           _ZL22rocblas_geam_1D_deviceILi256EPK19rocblas_complex_numIfES3_PS1_EvmT0_T1_llS5_S6_llT2_lli
    .private_segment_fixed_size: 0
    .sgpr_count:     33
    .sgpr_spill_count: 0
    .symbol:         _ZL22rocblas_geam_1D_deviceILi256EPK19rocblas_complex_numIfES3_PS1_EvmT0_T1_llS5_S6_llT2_lli.kd
    .uniform_work_group_size: 1
    .uses_dynamic_stack: false
    .vgpr_count:     22
    .vgpr_spill_count: 0
    .wavefront_size: 32
  - .args:
      - .offset:         0
        .size:           4
        .value_kind:     by_value
      - .offset:         4
        .size:           4
        .value_kind:     by_value
      - .offset:         8
        .size:           4
        .value_kind:     by_value
      - .offset:         12
        .size:           4
        .value_kind:     by_value
      - .offset:         16
        .size:           8
        .value_kind:     by_value
      - .address_space:  global
        .offset:         24
        .size:           8
        .value_kind:     global_buffer
      - .offset:         32
        .size:           8
        .value_kind:     by_value
      - .offset:         40
        .size:           8
        .value_kind:     by_value
      - .offset:         48
        .size:           8
        .value_kind:     by_value
      - .offset:         56
        .size:           8
        .value_kind:     by_value
      - .address_space:  global
        .offset:         64
        .size:           8
        .value_kind:     global_buffer
      - .offset:         72
        .size:           8
        .value_kind:     by_value
      - .offset:         80
        .size:           8
        .value_kind:     by_value
      - .offset:         88
        .size:           8
        .value_kind:     by_value
      - .address_space:  global
        .offset:         96
        .size:           8
        .value_kind:     global_buffer
      - .offset:         104
        .size:           8
        .value_kind:     by_value
      - .offset:         112
        .size:           8
        .value_kind:     by_value
      - .offset:         120
        .size:           8
        .value_kind:     by_value
      - .offset:         128
        .size:           4
        .value_kind:     by_value
    .group_segment_fixed_size: 0
    .kernarg_segment_align: 8
    .kernarg_segment_size: 132
    .language:       OpenCL C
    .language_version:
      - 2
      - 0
    .max_flat_workgroup_size: 256
    .name:           _ZL19rocblas_geam_deviceILi16ELi16E19rocblas_complex_numIfEPKS1_PS1_Ev18rocblas_operation_S5_iiT1_T2_lllS6_S7_lllT3_llli
    .private_segment_fixed_size: 0
    .sgpr_count:     47
    .sgpr_spill_count: 0
    .symbol:         _ZL19rocblas_geam_deviceILi16ELi16E19rocblas_complex_numIfEPKS1_PS1_Ev18rocblas_operation_S5_iiT1_T2_lllS6_S7_lllT3_llli.kd
    .uniform_work_group_size: 1
    .uses_dynamic_stack: false
    .vgpr_count:     22
    .vgpr_spill_count: 0
    .wavefront_size: 32
  - .args:
      - .offset:         0
        .size:           4
        .value_kind:     by_value
      - .offset:         4
        .size:           4
        .value_kind:     by_value
      - .offset:         8
        .size:           4
        .value_kind:     by_value
      - .offset:         12
        .size:           4
        .value_kind:     by_value
      - .address_space:  global
        .offset:         16
        .size:           8
        .value_kind:     global_buffer
      - .address_space:  global
        .offset:         24
        .size:           8
        .value_kind:     global_buffer
      - .offset:         32
        .size:           8
        .value_kind:     by_value
      - .offset:         40
        .size:           8
        .value_kind:     by_value
      - .offset:         48
        .size:           8
        .value_kind:     by_value
      - .address_space:  global
        .offset:         56
        .size:           8
        .value_kind:     global_buffer
      - .address_space:  global
        .offset:         64
        .size:           8
        .value_kind:     global_buffer
      - .offset:         72
        .size:           8
        .value_kind:     by_value
      - .offset:         80
        .size:           8
        .value_kind:     by_value
      - .offset:         88
        .size:           8
        .value_kind:     by_value
      - .address_space:  global
        .offset:         96
        .size:           8
        .value_kind:     global_buffer
      - .offset:         104
        .size:           8
        .value_kind:     by_value
      - .offset:         112
        .size:           8
        .value_kind:     by_value
      - .offset:         120
        .size:           8
        .value_kind:     by_value
      - .offset:         128
        .size:           4
        .value_kind:     by_value
    .group_segment_fixed_size: 0
    .kernarg_segment_align: 8
    .kernarg_segment_size: 132
    .language:       OpenCL C
    .language_version:
      - 2
      - 0
    .max_flat_workgroup_size: 256
    .name:           _ZL19rocblas_geam_deviceILi16ELi16EPK19rocblas_complex_numIfES3_PS1_Ev18rocblas_operation_S5_iiT1_T2_lllS6_S7_lllT3_llli
    .private_segment_fixed_size: 0
    .sgpr_count:     44
    .sgpr_spill_count: 0
    .symbol:         _ZL19rocblas_geam_deviceILi16ELi16EPK19rocblas_complex_numIfES3_PS1_Ev18rocblas_operation_S5_iiT1_T2_lllS6_S7_lllT3_llli.kd
    .uniform_work_group_size: 1
    .uses_dynamic_stack: false
    .vgpr_count:     24
    .vgpr_spill_count: 0
    .wavefront_size: 32
  - .args:
      - .offset:         0
        .size:           4
        .value_kind:     by_value
      - .offset:         4
        .size:           4
        .value_kind:     by_value
      - .address_space:  global
        .offset:         8
        .size:           8
        .value_kind:     global_buffer
      - .offset:         16
        .size:           8
        .value_kind:     by_value
      - .offset:         24
        .size:           8
        .value_kind:     by_value
      - .offset:         32
        .size:           8
        .value_kind:     by_value
      - .offset:         40
        .size:           4
        .value_kind:     by_value
    .group_segment_fixed_size: 0
    .kernarg_segment_align: 8
    .kernarg_segment_size: 44
    .language:       OpenCL C
    .language_version:
      - 2
      - 0
    .max_flat_workgroup_size: 256
    .name:           _ZL31rocblas_geam_zero_matrix_deviceILi16ELi16EP19rocblas_complex_numIdEEviiT1_llli
    .private_segment_fixed_size: 0
    .sgpr_count:     22
    .sgpr_spill_count: 0
    .symbol:         _ZL31rocblas_geam_zero_matrix_deviceILi16ELi16EP19rocblas_complex_numIdEEviiT1_llli.kd
    .uniform_work_group_size: 1
    .uses_dynamic_stack: false
    .vgpr_count:     8
    .vgpr_spill_count: 0
    .wavefront_size: 32
  - .args:
      - .offset:         0
        .size:           4
        .value_kind:     by_value
      - .offset:         4
        .size:           4
        .value_kind:     by_value
      - .offset:         8
        .size:           4
        .value_kind:     by_value
      - .offset:         16
        .size:           16
        .value_kind:     by_value
      - .offset:         32
        .size:           16
        .value_kind:     by_value
      - .address_space:  global
        .offset:         48
        .size:           8
        .value_kind:     global_buffer
      - .offset:         56
        .size:           8
        .value_kind:     by_value
      - .offset:         64
        .size:           8
        .value_kind:     by_value
      - .offset:         72
        .size:           8
        .value_kind:     by_value
      - .address_space:  global
        .offset:         80
        .size:           8
        .value_kind:     global_buffer
      - .offset:         88
        .size:           8
        .value_kind:     by_value
      - .offset:         96
        .size:           8
        .value_kind:     by_value
      - .offset:         104
        .size:           8
        .value_kind:     by_value
      - .offset:         112
        .size:           4
        .value_kind:     by_value
    .group_segment_fixed_size: 0
    .kernarg_segment_align: 8
    .kernarg_segment_size: 116
    .language:       OpenCL C
    .language_version:
      - 2
      - 0
    .max_flat_workgroup_size: 256
    .name:           _ZL27rocblas_geam_inplace_deviceILi16ELi16E19rocblas_complex_numIdEPKS1_PS1_Ev18rocblas_operation_iiT1_S6_T2_lllT3_llli
    .private_segment_fixed_size: 0
    .sgpr_count:     40
    .sgpr_spill_count: 0
    .symbol:         _ZL27rocblas_geam_inplace_deviceILi16ELi16E19rocblas_complex_numIdEPKS1_PS1_Ev18rocblas_operation_iiT1_S6_T2_lllT3_llli.kd
    .uniform_work_group_size: 1
    .uses_dynamic_stack: false
    .vgpr_count:     16
    .vgpr_spill_count: 0
    .wavefront_size: 32
  - .args:
      - .offset:         0
        .size:           4
        .value_kind:     by_value
      - .offset:         4
        .size:           4
        .value_kind:     by_value
      - .offset:         8
        .size:           4
        .value_kind:     by_value
      - .address_space:  global
        .offset:         16
        .size:           8
        .value_kind:     global_buffer
      - .address_space:  global
        .offset:         24
        .size:           8
        .value_kind:     global_buffer
      - .address_space:  global
        .offset:         32
        .size:           8
        .value_kind:     global_buffer
      - .offset:         40
        .size:           8
        .value_kind:     by_value
      - .offset:         48
        .size:           8
        .value_kind:     by_value
      - .offset:         56
        .size:           8
        .value_kind:     by_value
      - .address_space:  global
        .offset:         64
        .size:           8
        .value_kind:     global_buffer
      - .offset:         72
        .size:           8
        .value_kind:     by_value
      - .offset:         80
        .size:           8
        .value_kind:     by_value
      - .offset:         88
        .size:           8
        .value_kind:     by_value
      - .offset:         96
        .size:           4
        .value_kind:     by_value
    .group_segment_fixed_size: 0
    .kernarg_segment_align: 8
    .kernarg_segment_size: 100
    .language:       OpenCL C
    .language_version:
      - 2
      - 0
    .max_flat_workgroup_size: 256
    .name:           _ZL27rocblas_geam_inplace_deviceILi16ELi16EPK19rocblas_complex_numIdES3_PS1_Ev18rocblas_operation_iiT1_S6_T2_lllT3_llli
    .private_segment_fixed_size: 0
    .sgpr_count:     33
    .sgpr_spill_count: 0
    .symbol:         _ZL27rocblas_geam_inplace_deviceILi16ELi16EPK19rocblas_complex_numIdES3_PS1_Ev18rocblas_operation_iiT1_S6_T2_lllT3_llli.kd
    .uniform_work_group_size: 1
    .uses_dynamic_stack: false
    .vgpr_count:     24
    .vgpr_spill_count: 0
    .wavefront_size: 32
  - .args:
      - .offset:         0
        .size:           8
        .value_kind:     by_value
      - .offset:         8
        .size:           16
        .value_kind:     by_value
      - .address_space:  global
        .offset:         24
        .size:           8
        .value_kind:     global_buffer
      - .offset:         32
        .size:           8
        .value_kind:     by_value
      - .offset:         40
        .size:           8
        .value_kind:     by_value
      - .address_space:  global
        .offset:         48
        .size:           8
        .value_kind:     global_buffer
      - .offset:         56
        .size:           8
        .value_kind:     by_value
      - .offset:         64
        .size:           8
        .value_kind:     by_value
      - .offset:         72
        .size:           4
        .value_kind:     by_value
      - .offset:         80
        .size:           4
        .value_kind:     hidden_block_count_x
      - .offset:         84
        .size:           4
        .value_kind:     hidden_block_count_y
      - .offset:         88
        .size:           4
        .value_kind:     hidden_block_count_z
      - .offset:         92
        .size:           2
        .value_kind:     hidden_group_size_x
      - .offset:         94
        .size:           2
        .value_kind:     hidden_group_size_y
      - .offset:         96
        .size:           2
        .value_kind:     hidden_group_size_z
      - .offset:         98
        .size:           2
        .value_kind:     hidden_remainder_x
      - .offset:         100
        .size:           2
        .value_kind:     hidden_remainder_y
      - .offset:         102
        .size:           2
        .value_kind:     hidden_remainder_z
      - .offset:         120
        .size:           8
        .value_kind:     hidden_global_offset_x
      - .offset:         128
        .size:           8
        .value_kind:     hidden_global_offset_y
      - .offset:         136
        .size:           8
        .value_kind:     hidden_global_offset_z
      - .offset:         144
        .size:           2
        .value_kind:     hidden_grid_dims
    .group_segment_fixed_size: 0
    .kernarg_segment_align: 8
    .kernarg_segment_size: 336
    .language:       OpenCL C
    .language_version:
      - 2
      - 0
    .max_flat_workgroup_size: 256
    .name:           _ZL30rocblas_geam_1D_2matrix_deviceILi256E19rocblas_complex_numIdEPKS1_PS1_EvmT0_T1_llT2_lli
    .private_segment_fixed_size: 0
    .sgpr_count:     29
    .sgpr_spill_count: 0
    .symbol:         _ZL30rocblas_geam_1D_2matrix_deviceILi256E19rocblas_complex_numIdEPKS1_PS1_EvmT0_T1_llT2_lli.kd
    .uniform_work_group_size: 1
    .uses_dynamic_stack: false
    .vgpr_count:     12
    .vgpr_spill_count: 0
    .wavefront_size: 32
  - .args:
      - .offset:         0
        .size:           4
        .value_kind:     by_value
      - .offset:         4
        .size:           4
        .value_kind:     by_value
      - .offset:         8
        .size:           4
        .value_kind:     by_value
      - .offset:         16
        .size:           16
        .value_kind:     by_value
      - .address_space:  global
        .offset:         32
        .size:           8
        .value_kind:     global_buffer
      - .offset:         40
        .size:           8
        .value_kind:     by_value
      - .offset:         48
        .size:           8
        .value_kind:     by_value
      - .offset:         56
        .size:           8
        .value_kind:     by_value
      - .address_space:  global
        .offset:         64
        .size:           8
        .value_kind:     global_buffer
      - .offset:         72
        .size:           8
        .value_kind:     by_value
      - .offset:         80
        .size:           8
        .value_kind:     by_value
      - .offset:         88
        .size:           8
        .value_kind:     by_value
      - .offset:         96
        .size:           4
        .value_kind:     by_value
    .group_segment_fixed_size: 0
    .kernarg_segment_align: 8
    .kernarg_segment_size: 100
    .language:       OpenCL C
    .language_version:
      - 2
      - 0
    .max_flat_workgroup_size: 256
    .name:           _ZL27rocblas_geam_2matrix_deviceILi16ELi16E19rocblas_complex_numIdEPKS1_PS1_Ev18rocblas_operation_iiT1_T2_lllT3_llli
    .private_segment_fixed_size: 0
    .sgpr_count:     34
    .sgpr_spill_count: 0
    .symbol:         _ZL27rocblas_geam_2matrix_deviceILi16ELi16E19rocblas_complex_numIdEPKS1_PS1_Ev18rocblas_operation_iiT1_T2_lllT3_llli.kd
    .uniform_work_group_size: 1
    .uses_dynamic_stack: false
    .vgpr_count:     12
    .vgpr_spill_count: 0
    .wavefront_size: 32
  - .args:
      - .offset:         0
        .size:           8
        .value_kind:     by_value
      - .offset:         8
        .size:           16
        .value_kind:     by_value
      - .address_space:  global
        .offset:         24
        .size:           8
        .value_kind:     global_buffer
      - .offset:         32
        .size:           8
        .value_kind:     by_value
      - .offset:         40
        .size:           8
        .value_kind:     by_value
      - .offset:         48
        .size:           16
        .value_kind:     by_value
      - .address_space:  global
        .offset:         64
        .size:           8
        .value_kind:     global_buffer
      - .offset:         72
        .size:           8
        .value_kind:     by_value
      - .offset:         80
        .size:           8
        .value_kind:     by_value
      - .address_space:  global
        .offset:         88
        .size:           8
        .value_kind:     global_buffer
      - .offset:         96
        .size:           8
        .value_kind:     by_value
      - .offset:         104
        .size:           8
        .value_kind:     by_value
      - .offset:         112
        .size:           4
        .value_kind:     by_value
      - .offset:         120
        .size:           4
        .value_kind:     hidden_block_count_x
      - .offset:         124
        .size:           4
        .value_kind:     hidden_block_count_y
      - .offset:         128
        .size:           4
        .value_kind:     hidden_block_count_z
      - .offset:         132
        .size:           2
        .value_kind:     hidden_group_size_x
      - .offset:         134
        .size:           2
        .value_kind:     hidden_group_size_y
      - .offset:         136
        .size:           2
        .value_kind:     hidden_group_size_z
      - .offset:         138
        .size:           2
        .value_kind:     hidden_remainder_x
      - .offset:         140
        .size:           2
        .value_kind:     hidden_remainder_y
      - .offset:         142
        .size:           2
        .value_kind:     hidden_remainder_z
      - .offset:         160
        .size:           8
        .value_kind:     hidden_global_offset_x
      - .offset:         168
        .size:           8
        .value_kind:     hidden_global_offset_y
      - .offset:         176
        .size:           8
        .value_kind:     hidden_global_offset_z
      - .offset:         184
        .size:           2
        .value_kind:     hidden_grid_dims
    .group_segment_fixed_size: 0
    .kernarg_segment_align: 8
    .kernarg_segment_size: 376
    .language:       OpenCL C
    .language_version:
      - 2
      - 0
    .max_flat_workgroup_size: 256
    .name:           _ZL22rocblas_geam_1D_deviceILi256E19rocblas_complex_numIdEPKS1_PS1_EvmT0_T1_llS5_S6_llT2_lli
    .private_segment_fixed_size: 0
    .sgpr_count:     42
    .sgpr_spill_count: 0
    .symbol:         _ZL22rocblas_geam_1D_deviceILi256E19rocblas_complex_numIdEPKS1_PS1_EvmT0_T1_llS5_S6_llT2_lli.kd
    .uniform_work_group_size: 1
    .uses_dynamic_stack: false
    .vgpr_count:     20
    .vgpr_spill_count: 0
    .wavefront_size: 32
  - .args:
      - .offset:         0
        .size:           8
        .value_kind:     by_value
      - .address_space:  global
        .offset:         8
        .size:           8
        .value_kind:     global_buffer
      - .address_space:  global
        .offset:         16
        .size:           8
        .value_kind:     global_buffer
      - .offset:         24
        .size:           8
        .value_kind:     by_value
      - .offset:         32
        .size:           8
        .value_kind:     by_value
      - .address_space:  global
        .offset:         40
        .size:           8
        .value_kind:     global_buffer
      - .address_space:  global
        .offset:         48
        .size:           8
        .value_kind:     global_buffer
      - .offset:         56
        .size:           8
        .value_kind:     by_value
      - .offset:         64
        .size:           8
        .value_kind:     by_value
      - .address_space:  global
        .offset:         72
        .size:           8
        .value_kind:     global_buffer
      - .offset:         80
        .size:           8
        .value_kind:     by_value
      - .offset:         88
        .size:           8
        .value_kind:     by_value
      - .offset:         96
        .size:           4
        .value_kind:     by_value
      - .offset:         104
        .size:           4
        .value_kind:     hidden_block_count_x
      - .offset:         108
        .size:           4
        .value_kind:     hidden_block_count_y
      - .offset:         112
        .size:           4
        .value_kind:     hidden_block_count_z
      - .offset:         116
        .size:           2
        .value_kind:     hidden_group_size_x
      - .offset:         118
        .size:           2
        .value_kind:     hidden_group_size_y
      - .offset:         120
        .size:           2
        .value_kind:     hidden_group_size_z
      - .offset:         122
        .size:           2
        .value_kind:     hidden_remainder_x
      - .offset:         124
        .size:           2
        .value_kind:     hidden_remainder_y
      - .offset:         126
        .size:           2
        .value_kind:     hidden_remainder_z
      - .offset:         144
        .size:           8
        .value_kind:     hidden_global_offset_x
      - .offset:         152
        .size:           8
        .value_kind:     hidden_global_offset_y
      - .offset:         160
        .size:           8
        .value_kind:     hidden_global_offset_z
      - .offset:         168
        .size:           2
        .value_kind:     hidden_grid_dims
    .group_segment_fixed_size: 0
    .kernarg_segment_align: 8
    .kernarg_segment_size: 360
    .language:       OpenCL C
    .language_version:
      - 2
      - 0
    .max_flat_workgroup_size: 256
    .name:           _ZL22rocblas_geam_1D_deviceILi256EPK19rocblas_complex_numIdES3_PS1_EvmT0_T1_llS5_S6_llT2_lli
    .private_segment_fixed_size: 0
    .sgpr_count:     34
    .sgpr_spill_count: 0
    .symbol:         _ZL22rocblas_geam_1D_deviceILi256EPK19rocblas_complex_numIdES3_PS1_EvmT0_T1_llS5_S6_llT2_lli.kd
    .uniform_work_group_size: 1
    .uses_dynamic_stack: false
    .vgpr_count:     26
    .vgpr_spill_count: 0
    .wavefront_size: 32
  - .args:
      - .offset:         0
        .size:           4
        .value_kind:     by_value
      - .offset:         4
        .size:           4
        .value_kind:     by_value
      - .offset:         8
        .size:           4
        .value_kind:     by_value
      - .offset:         12
        .size:           4
        .value_kind:     by_value
      - .offset:         16
        .size:           16
        .value_kind:     by_value
      - .address_space:  global
        .offset:         32
        .size:           8
        .value_kind:     global_buffer
      - .offset:         40
        .size:           8
        .value_kind:     by_value
      - .offset:         48
        .size:           8
        .value_kind:     by_value
      - .offset:         56
        .size:           8
        .value_kind:     by_value
      - .offset:         64
        .size:           16
        .value_kind:     by_value
      - .address_space:  global
        .offset:         80
        .size:           8
        .value_kind:     global_buffer
      - .offset:         88
        .size:           8
        .value_kind:     by_value
      - .offset:         96
        .size:           8
        .value_kind:     by_value
      - .offset:         104
        .size:           8
        .value_kind:     by_value
      - .address_space:  global
        .offset:         112
        .size:           8
        .value_kind:     global_buffer
      - .offset:         120
        .size:           8
        .value_kind:     by_value
      - .offset:         128
        .size:           8
        .value_kind:     by_value
      - .offset:         136
        .size:           8
        .value_kind:     by_value
      - .offset:         144
        .size:           4
        .value_kind:     by_value
    .group_segment_fixed_size: 0
    .kernarg_segment_align: 8
    .kernarg_segment_size: 148
    .language:       OpenCL C
    .language_version:
      - 2
      - 0
    .max_flat_workgroup_size: 256
    .name:           _ZL19rocblas_geam_deviceILi16ELi16E19rocblas_complex_numIdEPKS1_PS1_Ev18rocblas_operation_S5_iiT1_T2_lllS6_S7_lllT3_llli
    .private_segment_fixed_size: 0
    .sgpr_count:     54
    .sgpr_spill_count: 0
    .symbol:         _ZL19rocblas_geam_deviceILi16ELi16E19rocblas_complex_numIdEPKS1_PS1_Ev18rocblas_operation_S5_iiT1_T2_lllS6_S7_lllT3_llli.kd
    .uniform_work_group_size: 1
    .uses_dynamic_stack: false
    .vgpr_count:     18
    .vgpr_spill_count: 0
    .wavefront_size: 32
  - .args:
      - .offset:         0
        .size:           4
        .value_kind:     by_value
      - .offset:         4
        .size:           4
        .value_kind:     by_value
      - .offset:         8
        .size:           4
        .value_kind:     by_value
      - .offset:         12
        .size:           4
        .value_kind:     by_value
      - .address_space:  global
        .offset:         16
        .size:           8
        .value_kind:     global_buffer
      - .address_space:  global
        .offset:         24
        .size:           8
        .value_kind:     global_buffer
      - .offset:         32
        .size:           8
        .value_kind:     by_value
      - .offset:         40
        .size:           8
        .value_kind:     by_value
      - .offset:         48
        .size:           8
        .value_kind:     by_value
      - .address_space:  global
        .offset:         56
        .size:           8
        .value_kind:     global_buffer
      - .address_space:  global
        .offset:         64
        .size:           8
        .value_kind:     global_buffer
      - .offset:         72
        .size:           8
        .value_kind:     by_value
      - .offset:         80
        .size:           8
        .value_kind:     by_value
      - .offset:         88
        .size:           8
        .value_kind:     by_value
      - .address_space:  global
        .offset:         96
        .size:           8
        .value_kind:     global_buffer
      - .offset:         104
        .size:           8
        .value_kind:     by_value
      - .offset:         112
        .size:           8
        .value_kind:     by_value
      - .offset:         120
        .size:           8
        .value_kind:     by_value
      - .offset:         128
        .size:           4
        .value_kind:     by_value
    .group_segment_fixed_size: 0
    .kernarg_segment_align: 8
    .kernarg_segment_size: 132
    .language:       OpenCL C
    .language_version:
      - 2
      - 0
    .max_flat_workgroup_size: 256
    .name:           _ZL19rocblas_geam_deviceILi16ELi16EPK19rocblas_complex_numIdES3_PS1_Ev18rocblas_operation_S5_iiT1_T2_lllS6_S7_lllT3_llli
    .private_segment_fixed_size: 0
    .sgpr_count:     44
    .sgpr_spill_count: 0
    .symbol:         _ZL19rocblas_geam_deviceILi16ELi16EPK19rocblas_complex_numIdES3_PS1_Ev18rocblas_operation_S5_iiT1_T2_lllS6_S7_lllT3_llli.kd
    .uniform_work_group_size: 1
    .uses_dynamic_stack: false
    .vgpr_count:     28
    .vgpr_spill_count: 0
    .wavefront_size: 32
  - .args:
      - .offset:         0
        .size:           4
        .value_kind:     by_value
      - .offset:         4
        .size:           4
        .value_kind:     by_value
      - .address_space:  global
        .offset:         8
        .size:           8
        .value_kind:     global_buffer
      - .offset:         16
        .size:           8
        .value_kind:     by_value
      - .offset:         24
        .size:           8
        .value_kind:     by_value
      - .offset:         32
        .size:           8
        .value_kind:     by_value
      - .offset:         40
        .size:           4
        .value_kind:     by_value
    .group_segment_fixed_size: 0
    .kernarg_segment_align: 8
    .kernarg_segment_size: 44
    .language:       OpenCL C
    .language_version:
      - 2
      - 0
    .max_flat_workgroup_size: 256
    .name:           _ZL31rocblas_geam_zero_matrix_deviceILi16ELi16EPKPfEviiT1_llli
    .private_segment_fixed_size: 0
    .sgpr_count:     18
    .sgpr_spill_count: 0
    .symbol:         _ZL31rocblas_geam_zero_matrix_deviceILi16ELi16EPKPfEviiT1_llli.kd
    .uniform_work_group_size: 1
    .uses_dynamic_stack: false
    .vgpr_count:     8
    .vgpr_spill_count: 0
    .wavefront_size: 32
  - .args:
      - .offset:         0
        .size:           4
        .value_kind:     by_value
      - .offset:         4
        .size:           4
        .value_kind:     by_value
      - .offset:         8
        .size:           4
        .value_kind:     by_value
      - .offset:         12
        .size:           4
        .value_kind:     by_value
      - .offset:         16
        .size:           4
        .value_kind:     by_value
      - .address_space:  global
        .offset:         24
        .size:           8
        .value_kind:     global_buffer
      - .offset:         32
        .size:           8
        .value_kind:     by_value
      - .offset:         40
        .size:           8
        .value_kind:     by_value
      - .offset:         48
        .size:           8
        .value_kind:     by_value
      - .address_space:  global
        .offset:         56
        .size:           8
        .value_kind:     global_buffer
      - .offset:         64
        .size:           8
        .value_kind:     by_value
      - .offset:         72
        .size:           8
        .value_kind:     by_value
      - .offset:         80
        .size:           8
        .value_kind:     by_value
      - .offset:         88
        .size:           4
        .value_kind:     by_value
    .group_segment_fixed_size: 0
    .kernarg_segment_align: 8
    .kernarg_segment_size: 92
    .language:       OpenCL C
    .language_version:
      - 2
      - 0
    .max_flat_workgroup_size: 256
    .name:           _ZL27rocblas_geam_inplace_deviceILi16ELi16EfPKPKfPKPfEv18rocblas_operation_iiT1_S8_T2_lllT3_llli
    .private_segment_fixed_size: 0
    .sgpr_count:     26
    .sgpr_spill_count: 0
    .symbol:         _ZL27rocblas_geam_inplace_deviceILi16ELi16EfPKPKfPKPfEv18rocblas_operation_iiT1_S8_T2_lllT3_llli.kd
    .uniform_work_group_size: 1
    .uses_dynamic_stack: false
    .vgpr_count:     10
    .vgpr_spill_count: 0
    .wavefront_size: 32
  - .args:
      - .offset:         0
        .size:           4
        .value_kind:     by_value
      - .offset:         4
        .size:           4
        .value_kind:     by_value
      - .offset:         8
        .size:           4
        .value_kind:     by_value
      - .address_space:  global
        .offset:         16
        .size:           8
        .value_kind:     global_buffer
      - .address_space:  global
        .offset:         24
        .size:           8
        .value_kind:     global_buffer
      - .address_space:  global
        .offset:         32
        .size:           8
        .value_kind:     global_buffer
      - .offset:         40
        .size:           8
        .value_kind:     by_value
      - .offset:         48
        .size:           8
        .value_kind:     by_value
      - .offset:         56
        .size:           8
        .value_kind:     by_value
      - .address_space:  global
        .offset:         64
        .size:           8
        .value_kind:     global_buffer
      - .offset:         72
        .size:           8
        .value_kind:     by_value
      - .offset:         80
        .size:           8
        .value_kind:     by_value
      - .offset:         88
        .size:           8
        .value_kind:     by_value
      - .offset:         96
        .size:           4
        .value_kind:     by_value
    .group_segment_fixed_size: 0
    .kernarg_segment_align: 8
    .kernarg_segment_size: 100
    .language:       OpenCL C
    .language_version:
      - 2
      - 0
    .max_flat_workgroup_size: 256
    .name:           _ZL27rocblas_geam_inplace_deviceILi16ELi16EPKfPKS1_PKPfEv18rocblas_operation_iiT1_S8_T2_lllT3_llli
    .private_segment_fixed_size: 0
    .sgpr_count:     26
    .sgpr_spill_count: 0
    .symbol:         _ZL27rocblas_geam_inplace_deviceILi16ELi16EPKfPKS1_PKPfEv18rocblas_operation_iiT1_S8_T2_lllT3_llli.kd
    .uniform_work_group_size: 1
    .uses_dynamic_stack: false
    .vgpr_count:     10
    .vgpr_spill_count: 0
    .wavefront_size: 32
  - .args:
      - .offset:         0
        .size:           8
        .value_kind:     by_value
      - .offset:         8
        .size:           4
        .value_kind:     by_value
      - .address_space:  global
        .offset:         16
        .size:           8
        .value_kind:     global_buffer
      - .offset:         24
        .size:           8
        .value_kind:     by_value
      - .offset:         32
        .size:           8
        .value_kind:     by_value
      - .address_space:  global
        .offset:         40
        .size:           8
        .value_kind:     global_buffer
      - .offset:         48
        .size:           8
        .value_kind:     by_value
      - .offset:         56
        .size:           8
        .value_kind:     by_value
      - .offset:         64
        .size:           4
        .value_kind:     by_value
      - .offset:         72
        .size:           4
        .value_kind:     hidden_block_count_x
      - .offset:         76
        .size:           4
        .value_kind:     hidden_block_count_y
      - .offset:         80
        .size:           4
        .value_kind:     hidden_block_count_z
      - .offset:         84
        .size:           2
        .value_kind:     hidden_group_size_x
      - .offset:         86
        .size:           2
        .value_kind:     hidden_group_size_y
      - .offset:         88
        .size:           2
        .value_kind:     hidden_group_size_z
      - .offset:         90
        .size:           2
        .value_kind:     hidden_remainder_x
      - .offset:         92
        .size:           2
        .value_kind:     hidden_remainder_y
      - .offset:         94
        .size:           2
        .value_kind:     hidden_remainder_z
      - .offset:         112
        .size:           8
        .value_kind:     hidden_global_offset_x
      - .offset:         120
        .size:           8
        .value_kind:     hidden_global_offset_y
      - .offset:         128
        .size:           8
        .value_kind:     hidden_global_offset_z
      - .offset:         136
        .size:           2
        .value_kind:     hidden_grid_dims
    .group_segment_fixed_size: 0
    .kernarg_segment_align: 8
    .kernarg_segment_size: 328
    .language:       OpenCL C
    .language_version:
      - 2
      - 0
    .max_flat_workgroup_size: 256
    .name:           _ZL30rocblas_geam_1D_2matrix_deviceILi256EfPKPKfPKPfEvmT0_T1_llT2_lli
    .private_segment_fixed_size: 0
    .sgpr_count:     20
    .sgpr_spill_count: 0
    .symbol:         _ZL30rocblas_geam_1D_2matrix_deviceILi256EfPKPKfPKPfEvmT0_T1_llT2_lli.kd
    .uniform_work_group_size: 1
    .uses_dynamic_stack: false
    .vgpr_count:     6
    .vgpr_spill_count: 0
    .wavefront_size: 32
  - .args:
      - .offset:         0
        .size:           4
        .value_kind:     by_value
      - .offset:         4
        .size:           4
        .value_kind:     by_value
      - .offset:         8
        .size:           4
        .value_kind:     by_value
      - .offset:         12
        .size:           4
        .value_kind:     by_value
      - .address_space:  global
        .offset:         16
        .size:           8
        .value_kind:     global_buffer
      - .offset:         24
        .size:           8
        .value_kind:     by_value
      - .offset:         32
        .size:           8
        .value_kind:     by_value
      - .offset:         40
        .size:           8
        .value_kind:     by_value
      - .address_space:  global
        .offset:         48
        .size:           8
        .value_kind:     global_buffer
      - .offset:         56
        .size:           8
        .value_kind:     by_value
      - .offset:         64
        .size:           8
        .value_kind:     by_value
      - .offset:         72
        .size:           8
        .value_kind:     by_value
      - .offset:         80
        .size:           4
        .value_kind:     by_value
    .group_segment_fixed_size: 0
    .kernarg_segment_align: 8
    .kernarg_segment_size: 84
    .language:       OpenCL C
    .language_version:
      - 2
      - 0
    .max_flat_workgroup_size: 256
    .name:           _ZL27rocblas_geam_2matrix_deviceILi16ELi16EfPKPKfPKPfEv18rocblas_operation_iiT1_T2_lllT3_llli
    .private_segment_fixed_size: 0
    .sgpr_count:     24
    .sgpr_spill_count: 0
    .symbol:         _ZL27rocblas_geam_2matrix_deviceILi16ELi16EfPKPKfPKPfEv18rocblas_operation_iiT1_T2_lllT3_llli.kd
    .uniform_work_group_size: 1
    .uses_dynamic_stack: false
    .vgpr_count:     10
    .vgpr_spill_count: 0
    .wavefront_size: 32
  - .args:
      - .offset:         0
        .size:           8
        .value_kind:     by_value
      - .offset:         8
        .size:           4
        .value_kind:     by_value
      - .address_space:  global
        .offset:         16
        .size:           8
        .value_kind:     global_buffer
      - .offset:         24
        .size:           8
        .value_kind:     by_value
      - .offset:         32
        .size:           8
        .value_kind:     by_value
      - .offset:         40
        .size:           4
        .value_kind:     by_value
      - .address_space:  global
        .offset:         48
        .size:           8
        .value_kind:     global_buffer
      - .offset:         56
        .size:           8
        .value_kind:     by_value
      - .offset:         64
        .size:           8
        .value_kind:     by_value
      - .address_space:  global
        .offset:         72
        .size:           8
        .value_kind:     global_buffer
      - .offset:         80
        .size:           8
        .value_kind:     by_value
      - .offset:         88
        .size:           8
        .value_kind:     by_value
      - .offset:         96
        .size:           4
        .value_kind:     by_value
      - .offset:         104
        .size:           4
        .value_kind:     hidden_block_count_x
      - .offset:         108
        .size:           4
        .value_kind:     hidden_block_count_y
      - .offset:         112
        .size:           4
        .value_kind:     hidden_block_count_z
      - .offset:         116
        .size:           2
        .value_kind:     hidden_group_size_x
      - .offset:         118
        .size:           2
        .value_kind:     hidden_group_size_y
      - .offset:         120
        .size:           2
        .value_kind:     hidden_group_size_z
      - .offset:         122
        .size:           2
        .value_kind:     hidden_remainder_x
      - .offset:         124
        .size:           2
        .value_kind:     hidden_remainder_y
      - .offset:         126
        .size:           2
        .value_kind:     hidden_remainder_z
      - .offset:         144
        .size:           8
        .value_kind:     hidden_global_offset_x
      - .offset:         152
        .size:           8
        .value_kind:     hidden_global_offset_y
      - .offset:         160
        .size:           8
        .value_kind:     hidden_global_offset_z
      - .offset:         168
        .size:           2
        .value_kind:     hidden_grid_dims
    .group_segment_fixed_size: 0
    .kernarg_segment_align: 8
    .kernarg_segment_size: 360
    .language:       OpenCL C
    .language_version:
      - 2
      - 0
    .max_flat_workgroup_size: 256
    .name:           _ZL22rocblas_geam_1D_deviceILi256EfPKPKfPKPfEvmT0_T1_llS7_S8_llT2_lli
    .private_segment_fixed_size: 0
    .sgpr_count:     26
    .sgpr_spill_count: 0
    .symbol:         _ZL22rocblas_geam_1D_deviceILi256EfPKPKfPKPfEvmT0_T1_llS7_S8_llT2_lli.kd
    .uniform_work_group_size: 1
    .uses_dynamic_stack: false
    .vgpr_count:     8
    .vgpr_spill_count: 0
    .wavefront_size: 32
  - .args:
      - .offset:         0
        .size:           8
        .value_kind:     by_value
      - .address_space:  global
        .offset:         8
        .size:           8
        .value_kind:     global_buffer
      - .address_space:  global
        .offset:         16
        .size:           8
        .value_kind:     global_buffer
      - .offset:         24
        .size:           8
        .value_kind:     by_value
      - .offset:         32
        .size:           8
        .value_kind:     by_value
      - .address_space:  global
        .offset:         40
        .size:           8
        .value_kind:     global_buffer
      - .address_space:  global
        .offset:         48
        .size:           8
        .value_kind:     global_buffer
      - .offset:         56
        .size:           8
        .value_kind:     by_value
      - .offset:         64
        .size:           8
        .value_kind:     by_value
      - .address_space:  global
        .offset:         72
        .size:           8
        .value_kind:     global_buffer
      - .offset:         80
        .size:           8
        .value_kind:     by_value
      - .offset:         88
        .size:           8
        .value_kind:     by_value
      - .offset:         96
        .size:           4
        .value_kind:     by_value
      - .offset:         104
        .size:           4
        .value_kind:     hidden_block_count_x
      - .offset:         108
        .size:           4
        .value_kind:     hidden_block_count_y
      - .offset:         112
        .size:           4
        .value_kind:     hidden_block_count_z
      - .offset:         116
        .size:           2
        .value_kind:     hidden_group_size_x
      - .offset:         118
        .size:           2
        .value_kind:     hidden_group_size_y
      - .offset:         120
        .size:           2
        .value_kind:     hidden_group_size_z
      - .offset:         122
        .size:           2
        .value_kind:     hidden_remainder_x
      - .offset:         124
        .size:           2
        .value_kind:     hidden_remainder_y
      - .offset:         126
        .size:           2
        .value_kind:     hidden_remainder_z
      - .offset:         144
        .size:           8
        .value_kind:     hidden_global_offset_x
      - .offset:         152
        .size:           8
        .value_kind:     hidden_global_offset_y
      - .offset:         160
        .size:           8
        .value_kind:     hidden_global_offset_z
      - .offset:         168
        .size:           2
        .value_kind:     hidden_grid_dims
    .group_segment_fixed_size: 0
    .kernarg_segment_align: 8
    .kernarg_segment_size: 360
    .language:       OpenCL C
    .language_version:
      - 2
      - 0
    .max_flat_workgroup_size: 256
    .name:           _ZL22rocblas_geam_1D_deviceILi256EPKfPKS1_PKPfEvmT0_T1_llS7_S8_llT2_lli
    .private_segment_fixed_size: 0
    .sgpr_count:     28
    .sgpr_spill_count: 0
    .symbol:         _ZL22rocblas_geam_1D_deviceILi256EPKfPKS1_PKPfEvmT0_T1_llS7_S8_llT2_lli.kd
    .uniform_work_group_size: 1
    .uses_dynamic_stack: false
    .vgpr_count:     8
    .vgpr_spill_count: 0
    .wavefront_size: 32
  - .args:
      - .offset:         0
        .size:           4
        .value_kind:     by_value
      - .offset:         4
        .size:           4
        .value_kind:     by_value
      - .offset:         8
        .size:           4
        .value_kind:     by_value
      - .offset:         12
        .size:           4
        .value_kind:     by_value
      - .offset:         16
        .size:           4
        .value_kind:     by_value
      - .address_space:  global
        .offset:         24
        .size:           8
        .value_kind:     global_buffer
      - .offset:         32
        .size:           8
        .value_kind:     by_value
      - .offset:         40
        .size:           8
        .value_kind:     by_value
      - .offset:         48
        .size:           8
        .value_kind:     by_value
      - .offset:         56
        .size:           4
        .value_kind:     by_value
      - .address_space:  global
        .offset:         64
        .size:           8
        .value_kind:     global_buffer
      - .offset:         72
        .size:           8
        .value_kind:     by_value
      - .offset:         80
        .size:           8
        .value_kind:     by_value
      - .offset:         88
        .size:           8
        .value_kind:     by_value
      - .address_space:  global
        .offset:         96
        .size:           8
        .value_kind:     global_buffer
      - .offset:         104
        .size:           8
        .value_kind:     by_value
      - .offset:         112
        .size:           8
        .value_kind:     by_value
      - .offset:         120
        .size:           8
        .value_kind:     by_value
      - .offset:         128
        .size:           4
        .value_kind:     by_value
    .group_segment_fixed_size: 0
    .kernarg_segment_align: 8
    .kernarg_segment_size: 132
    .language:       OpenCL C
    .language_version:
      - 2
      - 0
    .max_flat_workgroup_size: 256
    .name:           _ZL19rocblas_geam_deviceILi16ELi16EfPKPKfPKPfEv18rocblas_operation_S7_iiT1_T2_lllS8_S9_lllT3_llli
    .private_segment_fixed_size: 0
    .sgpr_count:     32
    .sgpr_spill_count: 0
    .symbol:         _ZL19rocblas_geam_deviceILi16ELi16EfPKPKfPKPfEv18rocblas_operation_S7_iiT1_T2_lllS8_S9_lllT3_llli.kd
    .uniform_work_group_size: 1
    .uses_dynamic_stack: false
    .vgpr_count:     14
    .vgpr_spill_count: 0
    .wavefront_size: 32
  - .args:
      - .offset:         0
        .size:           4
        .value_kind:     by_value
      - .offset:         4
        .size:           4
        .value_kind:     by_value
      - .offset:         8
        .size:           4
        .value_kind:     by_value
      - .offset:         12
        .size:           4
        .value_kind:     by_value
      - .address_space:  global
        .offset:         16
        .size:           8
        .value_kind:     global_buffer
      - .address_space:  global
        .offset:         24
        .size:           8
        .value_kind:     global_buffer
      - .offset:         32
        .size:           8
        .value_kind:     by_value
      - .offset:         40
        .size:           8
        .value_kind:     by_value
      - .offset:         48
        .size:           8
        .value_kind:     by_value
      - .address_space:  global
        .offset:         56
        .size:           8
        .value_kind:     global_buffer
      - .address_space:  global
        .offset:         64
        .size:           8
        .value_kind:     global_buffer
      - .offset:         72
        .size:           8
        .value_kind:     by_value
      - .offset:         80
        .size:           8
        .value_kind:     by_value
      - .offset:         88
        .size:           8
        .value_kind:     by_value
      - .address_space:  global
        .offset:         96
        .size:           8
        .value_kind:     global_buffer
      - .offset:         104
        .size:           8
        .value_kind:     by_value
      - .offset:         112
        .size:           8
        .value_kind:     by_value
      - .offset:         120
        .size:           8
        .value_kind:     by_value
      - .offset:         128
        .size:           4
        .value_kind:     by_value
    .group_segment_fixed_size: 0
    .kernarg_segment_align: 8
    .kernarg_segment_size: 132
    .language:       OpenCL C
    .language_version:
      - 2
      - 0
    .max_flat_workgroup_size: 256
    .name:           _ZL19rocblas_geam_deviceILi16ELi16EPKfPKS1_PKPfEv18rocblas_operation_S7_iiT1_T2_lllS8_S9_lllT3_llli
    .private_segment_fixed_size: 0
    .sgpr_count:     34
    .sgpr_spill_count: 0
    .symbol:         _ZL19rocblas_geam_deviceILi16ELi16EPKfPKS1_PKPfEv18rocblas_operation_S7_iiT1_T2_lllS8_S9_lllT3_llli.kd
    .uniform_work_group_size: 1
    .uses_dynamic_stack: false
    .vgpr_count:     16
    .vgpr_spill_count: 0
    .wavefront_size: 32
  - .args:
      - .offset:         0
        .size:           4
        .value_kind:     by_value
      - .offset:         4
        .size:           4
        .value_kind:     by_value
      - .address_space:  global
        .offset:         8
        .size:           8
        .value_kind:     global_buffer
      - .offset:         16
        .size:           8
        .value_kind:     by_value
      - .offset:         24
        .size:           8
        .value_kind:     by_value
      - .offset:         32
        .size:           8
        .value_kind:     by_value
      - .offset:         40
        .size:           4
        .value_kind:     by_value
    .group_segment_fixed_size: 0
    .kernarg_segment_align: 8
    .kernarg_segment_size: 44
    .language:       OpenCL C
    .language_version:
      - 2
      - 0
    .max_flat_workgroup_size: 256
    .name:           _ZL31rocblas_geam_zero_matrix_deviceILi16ELi16EPKPdEviiT1_llli
    .private_segment_fixed_size: 0
    .sgpr_count:     18
    .sgpr_spill_count: 0
    .symbol:         _ZL31rocblas_geam_zero_matrix_deviceILi16ELi16EPKPdEviiT1_llli.kd
    .uniform_work_group_size: 1
    .uses_dynamic_stack: false
    .vgpr_count:     8
    .vgpr_spill_count: 0
    .wavefront_size: 32
  - .args:
      - .offset:         0
        .size:           4
        .value_kind:     by_value
      - .offset:         4
        .size:           4
        .value_kind:     by_value
      - .offset:         8
        .size:           4
        .value_kind:     by_value
      - .offset:         16
        .size:           8
        .value_kind:     by_value
      - .offset:         24
        .size:           8
        .value_kind:     by_value
      - .address_space:  global
        .offset:         32
        .size:           8
        .value_kind:     global_buffer
      - .offset:         40
        .size:           8
        .value_kind:     by_value
      - .offset:         48
        .size:           8
        .value_kind:     by_value
      - .offset:         56
        .size:           8
        .value_kind:     by_value
      - .address_space:  global
        .offset:         64
        .size:           8
        .value_kind:     global_buffer
      - .offset:         72
        .size:           8
        .value_kind:     by_value
      - .offset:         80
        .size:           8
        .value_kind:     by_value
      - .offset:         88
        .size:           8
        .value_kind:     by_value
      - .offset:         96
        .size:           4
        .value_kind:     by_value
    .group_segment_fixed_size: 0
    .kernarg_segment_align: 8
    .kernarg_segment_size: 100
    .language:       OpenCL C
    .language_version:
      - 2
      - 0
    .max_flat_workgroup_size: 256
    .name:           _ZL27rocblas_geam_inplace_deviceILi16ELi16EdPKPKdPKPdEv18rocblas_operation_iiT1_S8_T2_lllT3_llli
    .private_segment_fixed_size: 0
    .sgpr_count:     28
    .sgpr_spill_count: 0
    .symbol:         _ZL27rocblas_geam_inplace_deviceILi16ELi16EdPKPKdPKPdEv18rocblas_operation_iiT1_S8_T2_lllT3_llli.kd
    .uniform_work_group_size: 1
    .uses_dynamic_stack: false
    .vgpr_count:     10
    .vgpr_spill_count: 0
    .wavefront_size: 32
  - .args:
      - .offset:         0
        .size:           4
        .value_kind:     by_value
      - .offset:         4
        .size:           4
        .value_kind:     by_value
      - .offset:         8
        .size:           4
        .value_kind:     by_value
      - .address_space:  global
        .offset:         16
        .size:           8
        .value_kind:     global_buffer
      - .address_space:  global
        .offset:         24
        .size:           8
        .value_kind:     global_buffer
      - .address_space:  global
        .offset:         32
        .size:           8
        .value_kind:     global_buffer
      - .offset:         40
        .size:           8
        .value_kind:     by_value
      - .offset:         48
        .size:           8
        .value_kind:     by_value
      - .offset:         56
        .size:           8
        .value_kind:     by_value
      - .address_space:  global
        .offset:         64
        .size:           8
        .value_kind:     global_buffer
      - .offset:         72
        .size:           8
        .value_kind:     by_value
      - .offset:         80
        .size:           8
        .value_kind:     by_value
      - .offset:         88
        .size:           8
        .value_kind:     by_value
      - .offset:         96
        .size:           4
        .value_kind:     by_value
    .group_segment_fixed_size: 0
    .kernarg_segment_align: 8
    .kernarg_segment_size: 100
    .language:       OpenCL C
    .language_version:
      - 2
      - 0
    .max_flat_workgroup_size: 256
    .name:           _ZL27rocblas_geam_inplace_deviceILi16ELi16EPKdPKS1_PKPdEv18rocblas_operation_iiT1_S8_T2_lllT3_llli
    .private_segment_fixed_size: 0
    .sgpr_count:     26
    .sgpr_spill_count: 0
    .symbol:         _ZL27rocblas_geam_inplace_deviceILi16ELi16EPKdPKS1_PKPdEv18rocblas_operation_iiT1_S8_T2_lllT3_llli.kd
    .uniform_work_group_size: 1
    .uses_dynamic_stack: false
    .vgpr_count:     14
    .vgpr_spill_count: 0
    .wavefront_size: 32
  - .args:
      - .offset:         0
        .size:           8
        .value_kind:     by_value
      - .offset:         8
        .size:           8
        .value_kind:     by_value
      - .address_space:  global
        .offset:         16
        .size:           8
        .value_kind:     global_buffer
      - .offset:         24
        .size:           8
        .value_kind:     by_value
      - .offset:         32
        .size:           8
        .value_kind:     by_value
      - .address_space:  global
        .offset:         40
        .size:           8
        .value_kind:     global_buffer
      - .offset:         48
        .size:           8
        .value_kind:     by_value
      - .offset:         56
        .size:           8
        .value_kind:     by_value
      - .offset:         64
        .size:           4
        .value_kind:     by_value
      - .offset:         72
        .size:           4
        .value_kind:     hidden_block_count_x
      - .offset:         76
        .size:           4
        .value_kind:     hidden_block_count_y
      - .offset:         80
        .size:           4
        .value_kind:     hidden_block_count_z
      - .offset:         84
        .size:           2
        .value_kind:     hidden_group_size_x
      - .offset:         86
        .size:           2
        .value_kind:     hidden_group_size_y
      - .offset:         88
        .size:           2
        .value_kind:     hidden_group_size_z
      - .offset:         90
        .size:           2
        .value_kind:     hidden_remainder_x
      - .offset:         92
        .size:           2
        .value_kind:     hidden_remainder_y
      - .offset:         94
        .size:           2
        .value_kind:     hidden_remainder_z
      - .offset:         112
        .size:           8
        .value_kind:     hidden_global_offset_x
      - .offset:         120
        .size:           8
        .value_kind:     hidden_global_offset_y
      - .offset:         128
        .size:           8
        .value_kind:     hidden_global_offset_z
      - .offset:         136
        .size:           2
        .value_kind:     hidden_grid_dims
    .group_segment_fixed_size: 0
    .kernarg_segment_align: 8
    .kernarg_segment_size: 328
    .language:       OpenCL C
    .language_version:
      - 2
      - 0
    .max_flat_workgroup_size: 256
    .name:           _ZL30rocblas_geam_1D_2matrix_deviceILi256EdPKPKdPKPdEvmT0_T1_llT2_lli
    .private_segment_fixed_size: 0
    .sgpr_count:     22
    .sgpr_spill_count: 0
    .symbol:         _ZL30rocblas_geam_1D_2matrix_deviceILi256EdPKPKdPKPdEvmT0_T1_llT2_lli.kd
    .uniform_work_group_size: 1
    .uses_dynamic_stack: false
    .vgpr_count:     6
    .vgpr_spill_count: 0
    .wavefront_size: 32
  - .args:
      - .offset:         0
        .size:           4
        .value_kind:     by_value
      - .offset:         4
        .size:           4
        .value_kind:     by_value
      - .offset:         8
        .size:           4
        .value_kind:     by_value
      - .offset:         16
        .size:           8
        .value_kind:     by_value
      - .address_space:  global
        .offset:         24
        .size:           8
        .value_kind:     global_buffer
      - .offset:         32
        .size:           8
        .value_kind:     by_value
      - .offset:         40
        .size:           8
        .value_kind:     by_value
      - .offset:         48
        .size:           8
        .value_kind:     by_value
      - .address_space:  global
        .offset:         56
        .size:           8
        .value_kind:     global_buffer
      - .offset:         64
        .size:           8
        .value_kind:     by_value
      - .offset:         72
        .size:           8
        .value_kind:     by_value
      - .offset:         80
        .size:           8
        .value_kind:     by_value
      - .offset:         88
        .size:           4
        .value_kind:     by_value
    .group_segment_fixed_size: 0
    .kernarg_segment_align: 8
    .kernarg_segment_size: 92
    .language:       OpenCL C
    .language_version:
      - 2
      - 0
    .max_flat_workgroup_size: 256
    .name:           _ZL27rocblas_geam_2matrix_deviceILi16ELi16EdPKPKdPKPdEv18rocblas_operation_iiT1_T2_lllT3_llli
    .private_segment_fixed_size: 0
    .sgpr_count:     24
    .sgpr_spill_count: 0
    .symbol:         _ZL27rocblas_geam_2matrix_deviceILi16ELi16EdPKPKdPKPdEv18rocblas_operation_iiT1_T2_lllT3_llli.kd
    .uniform_work_group_size: 1
    .uses_dynamic_stack: false
    .vgpr_count:     10
    .vgpr_spill_count: 0
    .wavefront_size: 32
  - .args:
      - .offset:         0
        .size:           8
        .value_kind:     by_value
      - .offset:         8
        .size:           8
        .value_kind:     by_value
      - .address_space:  global
        .offset:         16
        .size:           8
        .value_kind:     global_buffer
      - .offset:         24
        .size:           8
        .value_kind:     by_value
      - .offset:         32
        .size:           8
        .value_kind:     by_value
      - .offset:         40
        .size:           8
        .value_kind:     by_value
      - .address_space:  global
        .offset:         48
        .size:           8
        .value_kind:     global_buffer
      - .offset:         56
        .size:           8
        .value_kind:     by_value
      - .offset:         64
        .size:           8
        .value_kind:     by_value
      - .address_space:  global
        .offset:         72
        .size:           8
        .value_kind:     global_buffer
      - .offset:         80
        .size:           8
        .value_kind:     by_value
      - .offset:         88
        .size:           8
        .value_kind:     by_value
      - .offset:         96
        .size:           4
        .value_kind:     by_value
      - .offset:         104
        .size:           4
        .value_kind:     hidden_block_count_x
      - .offset:         108
        .size:           4
        .value_kind:     hidden_block_count_y
      - .offset:         112
        .size:           4
        .value_kind:     hidden_block_count_z
      - .offset:         116
        .size:           2
        .value_kind:     hidden_group_size_x
      - .offset:         118
        .size:           2
        .value_kind:     hidden_group_size_y
      - .offset:         120
        .size:           2
        .value_kind:     hidden_group_size_z
      - .offset:         122
        .size:           2
        .value_kind:     hidden_remainder_x
      - .offset:         124
        .size:           2
        .value_kind:     hidden_remainder_y
      - .offset:         126
        .size:           2
        .value_kind:     hidden_remainder_z
      - .offset:         144
        .size:           8
        .value_kind:     hidden_global_offset_x
      - .offset:         152
        .size:           8
        .value_kind:     hidden_global_offset_y
      - .offset:         160
        .size:           8
        .value_kind:     hidden_global_offset_z
      - .offset:         168
        .size:           2
        .value_kind:     hidden_grid_dims
    .group_segment_fixed_size: 0
    .kernarg_segment_align: 8
    .kernarg_segment_size: 360
    .language:       OpenCL C
    .language_version:
      - 2
      - 0
    .max_flat_workgroup_size: 256
    .name:           _ZL22rocblas_geam_1D_deviceILi256EdPKPKdPKPdEvmT0_T1_llS7_S8_llT2_lli
    .private_segment_fixed_size: 0
    .sgpr_count:     30
    .sgpr_spill_count: 0
    .symbol:         _ZL22rocblas_geam_1D_deviceILi256EdPKPKdPKPdEvmT0_T1_llS7_S8_llT2_lli.kd
    .uniform_work_group_size: 1
    .uses_dynamic_stack: false
    .vgpr_count:     8
    .vgpr_spill_count: 0
    .wavefront_size: 32
  - .args:
      - .offset:         0
        .size:           8
        .value_kind:     by_value
      - .address_space:  global
        .offset:         8
        .size:           8
        .value_kind:     global_buffer
      - .address_space:  global
        .offset:         16
        .size:           8
        .value_kind:     global_buffer
      - .offset:         24
        .size:           8
        .value_kind:     by_value
      - .offset:         32
        .size:           8
        .value_kind:     by_value
      - .address_space:  global
        .offset:         40
        .size:           8
        .value_kind:     global_buffer
      - .address_space:  global
        .offset:         48
        .size:           8
        .value_kind:     global_buffer
      - .offset:         56
        .size:           8
        .value_kind:     by_value
      - .offset:         64
        .size:           8
        .value_kind:     by_value
      - .address_space:  global
        .offset:         72
        .size:           8
        .value_kind:     global_buffer
      - .offset:         80
        .size:           8
        .value_kind:     by_value
      - .offset:         88
        .size:           8
        .value_kind:     by_value
      - .offset:         96
        .size:           4
        .value_kind:     by_value
      - .offset:         104
        .size:           4
        .value_kind:     hidden_block_count_x
      - .offset:         108
        .size:           4
        .value_kind:     hidden_block_count_y
      - .offset:         112
        .size:           4
        .value_kind:     hidden_block_count_z
      - .offset:         116
        .size:           2
        .value_kind:     hidden_group_size_x
      - .offset:         118
        .size:           2
        .value_kind:     hidden_group_size_y
      - .offset:         120
        .size:           2
        .value_kind:     hidden_group_size_z
      - .offset:         122
        .size:           2
        .value_kind:     hidden_remainder_x
      - .offset:         124
        .size:           2
        .value_kind:     hidden_remainder_y
      - .offset:         126
        .size:           2
        .value_kind:     hidden_remainder_z
      - .offset:         144
        .size:           8
        .value_kind:     hidden_global_offset_x
      - .offset:         152
        .size:           8
        .value_kind:     hidden_global_offset_y
      - .offset:         160
        .size:           8
        .value_kind:     hidden_global_offset_z
      - .offset:         168
        .size:           2
        .value_kind:     hidden_grid_dims
    .group_segment_fixed_size: 0
    .kernarg_segment_align: 8
    .kernarg_segment_size: 360
    .language:       OpenCL C
    .language_version:
      - 2
      - 0
    .max_flat_workgroup_size: 256
    .name:           _ZL22rocblas_geam_1D_deviceILi256EPKdPKS1_PKPdEvmT0_T1_llS7_S8_llT2_lli
    .private_segment_fixed_size: 0
    .sgpr_count:     28
    .sgpr_spill_count: 0
    .symbol:         _ZL22rocblas_geam_1D_deviceILi256EPKdPKS1_PKPdEvmT0_T1_llS7_S8_llT2_lli.kd
    .uniform_work_group_size: 1
    .uses_dynamic_stack: false
    .vgpr_count:     12
    .vgpr_spill_count: 0
    .wavefront_size: 32
  - .args:
      - .offset:         0
        .size:           4
        .value_kind:     by_value
      - .offset:         4
        .size:           4
        .value_kind:     by_value
      - .offset:         8
        .size:           4
        .value_kind:     by_value
      - .offset:         12
        .size:           4
        .value_kind:     by_value
      - .offset:         16
        .size:           8
        .value_kind:     by_value
      - .address_space:  global
        .offset:         24
        .size:           8
        .value_kind:     global_buffer
      - .offset:         32
        .size:           8
        .value_kind:     by_value
      - .offset:         40
        .size:           8
        .value_kind:     by_value
      - .offset:         48
        .size:           8
        .value_kind:     by_value
      - .offset:         56
        .size:           8
        .value_kind:     by_value
      - .address_space:  global
        .offset:         64
        .size:           8
        .value_kind:     global_buffer
      - .offset:         72
        .size:           8
        .value_kind:     by_value
      - .offset:         80
        .size:           8
        .value_kind:     by_value
      - .offset:         88
        .size:           8
        .value_kind:     by_value
      - .address_space:  global
        .offset:         96
        .size:           8
        .value_kind:     global_buffer
      - .offset:         104
        .size:           8
        .value_kind:     by_value
      - .offset:         112
        .size:           8
        .value_kind:     by_value
      - .offset:         120
        .size:           8
        .value_kind:     by_value
      - .offset:         128
        .size:           4
        .value_kind:     by_value
    .group_segment_fixed_size: 0
    .kernarg_segment_align: 8
    .kernarg_segment_size: 132
    .language:       OpenCL C
    .language_version:
      - 2
      - 0
    .max_flat_workgroup_size: 256
    .name:           _ZL19rocblas_geam_deviceILi16ELi16EdPKPKdPKPdEv18rocblas_operation_S7_iiT1_T2_lllS8_S9_lllT3_llli
    .private_segment_fixed_size: 0
    .sgpr_count:     34
    .sgpr_spill_count: 0
    .symbol:         _ZL19rocblas_geam_deviceILi16ELi16EdPKPKdPKPdEv18rocblas_operation_S7_iiT1_T2_lllS8_S9_lllT3_llli.kd
    .uniform_work_group_size: 1
    .uses_dynamic_stack: false
    .vgpr_count:     14
    .vgpr_spill_count: 0
    .wavefront_size: 32
  - .args:
      - .offset:         0
        .size:           4
        .value_kind:     by_value
      - .offset:         4
        .size:           4
        .value_kind:     by_value
      - .offset:         8
        .size:           4
        .value_kind:     by_value
      - .offset:         12
        .size:           4
        .value_kind:     by_value
      - .address_space:  global
        .offset:         16
        .size:           8
        .value_kind:     global_buffer
      - .address_space:  global
        .offset:         24
        .size:           8
        .value_kind:     global_buffer
      - .offset:         32
        .size:           8
        .value_kind:     by_value
      - .offset:         40
        .size:           8
        .value_kind:     by_value
      - .offset:         48
        .size:           8
        .value_kind:     by_value
      - .address_space:  global
        .offset:         56
        .size:           8
        .value_kind:     global_buffer
      - .address_space:  global
        .offset:         64
        .size:           8
        .value_kind:     global_buffer
      - .offset:         72
        .size:           8
        .value_kind:     by_value
      - .offset:         80
        .size:           8
        .value_kind:     by_value
      - .offset:         88
        .size:           8
        .value_kind:     by_value
      - .address_space:  global
        .offset:         96
        .size:           8
        .value_kind:     global_buffer
      - .offset:         104
        .size:           8
        .value_kind:     by_value
      - .offset:         112
        .size:           8
        .value_kind:     by_value
      - .offset:         120
        .size:           8
        .value_kind:     by_value
      - .offset:         128
        .size:           4
        .value_kind:     by_value
    .group_segment_fixed_size: 0
    .kernarg_segment_align: 8
    .kernarg_segment_size: 132
    .language:       OpenCL C
    .language_version:
      - 2
      - 0
    .max_flat_workgroup_size: 256
    .name:           _ZL19rocblas_geam_deviceILi16ELi16EPKdPKS1_PKPdEv18rocblas_operation_S7_iiT1_T2_lllS8_S9_lllT3_llli
    .private_segment_fixed_size: 0
    .sgpr_count:     34
    .sgpr_spill_count: 0
    .symbol:         _ZL19rocblas_geam_deviceILi16ELi16EPKdPKS1_PKPdEv18rocblas_operation_S7_iiT1_T2_lllS8_S9_lllT3_llli.kd
    .uniform_work_group_size: 1
    .uses_dynamic_stack: false
    .vgpr_count:     17
    .vgpr_spill_count: 0
    .wavefront_size: 32
  - .args:
      - .offset:         0
        .size:           4
        .value_kind:     by_value
      - .offset:         4
        .size:           4
        .value_kind:     by_value
      - .address_space:  global
        .offset:         8
        .size:           8
        .value_kind:     global_buffer
      - .offset:         16
        .size:           8
        .value_kind:     by_value
      - .offset:         24
        .size:           8
        .value_kind:     by_value
      - .offset:         32
        .size:           8
        .value_kind:     by_value
      - .offset:         40
        .size:           4
        .value_kind:     by_value
    .group_segment_fixed_size: 0
    .kernarg_segment_align: 8
    .kernarg_segment_size: 44
    .language:       OpenCL C
    .language_version:
      - 2
      - 0
    .max_flat_workgroup_size: 256
    .name:           _ZL31rocblas_geam_zero_matrix_deviceILi16ELi16EPKP19rocblas_complex_numIfEEviiT1_llli
    .private_segment_fixed_size: 0
    .sgpr_count:     18
    .sgpr_spill_count: 0
    .symbol:         _ZL31rocblas_geam_zero_matrix_deviceILi16ELi16EPKP19rocblas_complex_numIfEEviiT1_llli.kd
    .uniform_work_group_size: 1
    .uses_dynamic_stack: false
    .vgpr_count:     8
    .vgpr_spill_count: 0
    .wavefront_size: 32
  - .args:
      - .offset:         0
        .size:           4
        .value_kind:     by_value
      - .offset:         4
        .size:           4
        .value_kind:     by_value
      - .offset:         8
        .size:           4
        .value_kind:     by_value
      - .offset:         12
        .size:           8
        .value_kind:     by_value
      - .offset:         20
        .size:           8
        .value_kind:     by_value
      - .address_space:  global
        .offset:         32
        .size:           8
        .value_kind:     global_buffer
      - .offset:         40
        .size:           8
        .value_kind:     by_value
      - .offset:         48
        .size:           8
        .value_kind:     by_value
      - .offset:         56
        .size:           8
        .value_kind:     by_value
      - .address_space:  global
        .offset:         64
        .size:           8
        .value_kind:     global_buffer
      - .offset:         72
        .size:           8
        .value_kind:     by_value
      - .offset:         80
        .size:           8
        .value_kind:     by_value
      - .offset:         88
        .size:           8
        .value_kind:     by_value
      - .offset:         96
        .size:           4
        .value_kind:     by_value
    .group_segment_fixed_size: 0
    .kernarg_segment_align: 8
    .kernarg_segment_size: 100
    .language:       OpenCL C
    .language_version:
      - 2
      - 0
    .max_flat_workgroup_size: 256
    .name:           _ZL27rocblas_geam_inplace_deviceILi16ELi16E19rocblas_complex_numIfEPKPKS1_PKPS1_Ev18rocblas_operation_iiT1_SA_T2_lllT3_llli
    .private_segment_fixed_size: 0
    .sgpr_count:     28
    .sgpr_spill_count: 0
    .symbol:         _ZL27rocblas_geam_inplace_deviceILi16ELi16E19rocblas_complex_numIfEPKPKS1_PKPS1_Ev18rocblas_operation_iiT1_SA_T2_lllT3_llli.kd
    .uniform_work_group_size: 1
    .uses_dynamic_stack: false
    .vgpr_count:     18
    .vgpr_spill_count: 0
    .wavefront_size: 32
  - .args:
      - .offset:         0
        .size:           4
        .value_kind:     by_value
      - .offset:         4
        .size:           4
        .value_kind:     by_value
      - .offset:         8
        .size:           4
        .value_kind:     by_value
      - .address_space:  global
        .offset:         16
        .size:           8
        .value_kind:     global_buffer
      - .address_space:  global
        .offset:         24
        .size:           8
        .value_kind:     global_buffer
      - .address_space:  global
        .offset:         32
        .size:           8
        .value_kind:     global_buffer
      - .offset:         40
        .size:           8
        .value_kind:     by_value
      - .offset:         48
        .size:           8
        .value_kind:     by_value
      - .offset:         56
        .size:           8
        .value_kind:     by_value
      - .address_space:  global
        .offset:         64
        .size:           8
        .value_kind:     global_buffer
      - .offset:         72
        .size:           8
        .value_kind:     by_value
      - .offset:         80
        .size:           8
        .value_kind:     by_value
      - .offset:         88
        .size:           8
        .value_kind:     by_value
      - .offset:         96
        .size:           4
        .value_kind:     by_value
    .group_segment_fixed_size: 0
    .kernarg_segment_align: 8
    .kernarg_segment_size: 100
    .language:       OpenCL C
    .language_version:
      - 2
      - 0
    .max_flat_workgroup_size: 256
    .name:           _ZL27rocblas_geam_inplace_deviceILi16ELi16EPK19rocblas_complex_numIfEPKS3_PKPS1_Ev18rocblas_operation_iiT1_SA_T2_lllT3_llli
    .private_segment_fixed_size: 0
    .sgpr_count:     26
    .sgpr_spill_count: 0
    .symbol:         _ZL27rocblas_geam_inplace_deviceILi16ELi16EPK19rocblas_complex_numIfEPKS3_PKPS1_Ev18rocblas_operation_iiT1_SA_T2_lllT3_llli.kd
    .uniform_work_group_size: 1
    .uses_dynamic_stack: false
    .vgpr_count:     18
    .vgpr_spill_count: 0
    .wavefront_size: 32
  - .args:
      - .offset:         0
        .size:           8
        .value_kind:     by_value
      - .offset:         8
        .size:           8
        .value_kind:     by_value
      - .address_space:  global
        .offset:         16
        .size:           8
        .value_kind:     global_buffer
      - .offset:         24
        .size:           8
        .value_kind:     by_value
      - .offset:         32
        .size:           8
        .value_kind:     by_value
      - .address_space:  global
        .offset:         40
        .size:           8
        .value_kind:     global_buffer
      - .offset:         48
        .size:           8
        .value_kind:     by_value
      - .offset:         56
        .size:           8
        .value_kind:     by_value
      - .offset:         64
        .size:           4
        .value_kind:     by_value
      - .offset:         72
        .size:           4
        .value_kind:     hidden_block_count_x
      - .offset:         76
        .size:           4
        .value_kind:     hidden_block_count_y
      - .offset:         80
        .size:           4
        .value_kind:     hidden_block_count_z
      - .offset:         84
        .size:           2
        .value_kind:     hidden_group_size_x
      - .offset:         86
        .size:           2
        .value_kind:     hidden_group_size_y
      - .offset:         88
        .size:           2
        .value_kind:     hidden_group_size_z
      - .offset:         90
        .size:           2
        .value_kind:     hidden_remainder_x
      - .offset:         92
        .size:           2
        .value_kind:     hidden_remainder_y
      - .offset:         94
        .size:           2
        .value_kind:     hidden_remainder_z
      - .offset:         112
        .size:           8
        .value_kind:     hidden_global_offset_x
      - .offset:         120
        .size:           8
        .value_kind:     hidden_global_offset_y
      - .offset:         128
        .size:           8
        .value_kind:     hidden_global_offset_z
      - .offset:         136
        .size:           2
        .value_kind:     hidden_grid_dims
    .group_segment_fixed_size: 0
    .kernarg_segment_align: 8
    .kernarg_segment_size: 328
    .language:       OpenCL C
    .language_version:
      - 2
      - 0
    .max_flat_workgroup_size: 256
    .name:           _ZL30rocblas_geam_1D_2matrix_deviceILi256E19rocblas_complex_numIfEPKPKS1_PKPS1_EvmT0_T1_llT2_lli
    .private_segment_fixed_size: 0
    .sgpr_count:     22
    .sgpr_spill_count: 0
    .symbol:         _ZL30rocblas_geam_1D_2matrix_deviceILi256E19rocblas_complex_numIfEPKPKS1_PKPS1_EvmT0_T1_llT2_lli.kd
    .uniform_work_group_size: 1
    .uses_dynamic_stack: false
    .vgpr_count:     20
    .vgpr_spill_count: 0
    .wavefront_size: 32
  - .args:
      - .offset:         0
        .size:           4
        .value_kind:     by_value
      - .offset:         4
        .size:           4
        .value_kind:     by_value
      - .offset:         8
        .size:           4
        .value_kind:     by_value
      - .offset:         12
        .size:           8
        .value_kind:     by_value
      - .address_space:  global
        .offset:         24
        .size:           8
        .value_kind:     global_buffer
      - .offset:         32
        .size:           8
        .value_kind:     by_value
      - .offset:         40
        .size:           8
        .value_kind:     by_value
      - .offset:         48
        .size:           8
        .value_kind:     by_value
      - .address_space:  global
        .offset:         56
        .size:           8
        .value_kind:     global_buffer
      - .offset:         64
        .size:           8
        .value_kind:     by_value
      - .offset:         72
        .size:           8
        .value_kind:     by_value
      - .offset:         80
        .size:           8
        .value_kind:     by_value
      - .offset:         88
        .size:           4
        .value_kind:     by_value
    .group_segment_fixed_size: 0
    .kernarg_segment_align: 8
    .kernarg_segment_size: 92
    .language:       OpenCL C
    .language_version:
      - 2
      - 0
    .max_flat_workgroup_size: 256
    .name:           _ZL27rocblas_geam_2matrix_deviceILi16ELi16E19rocblas_complex_numIfEPKPKS1_PKPS1_Ev18rocblas_operation_iiT1_T2_lllT3_llli
    .private_segment_fixed_size: 0
    .sgpr_count:     24
    .sgpr_spill_count: 0
    .symbol:         _ZL27rocblas_geam_2matrix_deviceILi16ELi16E19rocblas_complex_numIfEPKPKS1_PKPS1_Ev18rocblas_operation_iiT1_T2_lllT3_llli.kd
    .uniform_work_group_size: 1
    .uses_dynamic_stack: false
    .vgpr_count:     18
    .vgpr_spill_count: 0
    .wavefront_size: 32
  - .args:
      - .offset:         0
        .size:           8
        .value_kind:     by_value
      - .offset:         8
        .size:           8
        .value_kind:     by_value
      - .address_space:  global
        .offset:         16
        .size:           8
        .value_kind:     global_buffer
      - .offset:         24
        .size:           8
        .value_kind:     by_value
      - .offset:         32
        .size:           8
        .value_kind:     by_value
      - .offset:         40
        .size:           8
        .value_kind:     by_value
      - .address_space:  global
        .offset:         48
        .size:           8
        .value_kind:     global_buffer
      - .offset:         56
        .size:           8
        .value_kind:     by_value
      - .offset:         64
        .size:           8
        .value_kind:     by_value
      - .address_space:  global
        .offset:         72
        .size:           8
        .value_kind:     global_buffer
      - .offset:         80
        .size:           8
        .value_kind:     by_value
      - .offset:         88
        .size:           8
        .value_kind:     by_value
      - .offset:         96
        .size:           4
        .value_kind:     by_value
      - .offset:         104
        .size:           4
        .value_kind:     hidden_block_count_x
      - .offset:         108
        .size:           4
        .value_kind:     hidden_block_count_y
      - .offset:         112
        .size:           4
        .value_kind:     hidden_block_count_z
      - .offset:         116
        .size:           2
        .value_kind:     hidden_group_size_x
      - .offset:         118
        .size:           2
        .value_kind:     hidden_group_size_y
      - .offset:         120
        .size:           2
        .value_kind:     hidden_group_size_z
      - .offset:         122
        .size:           2
        .value_kind:     hidden_remainder_x
      - .offset:         124
        .size:           2
        .value_kind:     hidden_remainder_y
      - .offset:         126
        .size:           2
        .value_kind:     hidden_remainder_z
      - .offset:         144
        .size:           8
        .value_kind:     hidden_global_offset_x
      - .offset:         152
        .size:           8
        .value_kind:     hidden_global_offset_y
      - .offset:         160
        .size:           8
        .value_kind:     hidden_global_offset_z
      - .offset:         168
        .size:           2
        .value_kind:     hidden_grid_dims
    .group_segment_fixed_size: 0
    .kernarg_segment_align: 8
    .kernarg_segment_size: 360
    .language:       OpenCL C
    .language_version:
      - 2
      - 0
    .max_flat_workgroup_size: 256
    .name:           _ZL22rocblas_geam_1D_deviceILi256E19rocblas_complex_numIfEPKPKS1_PKPS1_EvmT0_T1_llS9_SA_llT2_lli
    .private_segment_fixed_size: 0
    .sgpr_count:     34
    .sgpr_spill_count: 0
    .symbol:         _ZL22rocblas_geam_1D_deviceILi256E19rocblas_complex_numIfEPKPKS1_PKPS1_EvmT0_T1_llS9_SA_llT2_lli.kd
    .uniform_work_group_size: 1
    .uses_dynamic_stack: false
    .vgpr_count:     22
    .vgpr_spill_count: 0
    .wavefront_size: 32
  - .args:
      - .offset:         0
        .size:           8
        .value_kind:     by_value
      - .address_space:  global
        .offset:         8
        .size:           8
        .value_kind:     global_buffer
      - .address_space:  global
        .offset:         16
        .size:           8
        .value_kind:     global_buffer
      - .offset:         24
        .size:           8
        .value_kind:     by_value
      - .offset:         32
        .size:           8
        .value_kind:     by_value
      - .address_space:  global
        .offset:         40
        .size:           8
        .value_kind:     global_buffer
      - .address_space:  global
        .offset:         48
        .size:           8
        .value_kind:     global_buffer
      - .offset:         56
        .size:           8
        .value_kind:     by_value
      - .offset:         64
        .size:           8
        .value_kind:     by_value
      - .address_space:  global
        .offset:         72
        .size:           8
        .value_kind:     global_buffer
      - .offset:         80
        .size:           8
        .value_kind:     by_value
      - .offset:         88
        .size:           8
        .value_kind:     by_value
      - .offset:         96
        .size:           4
        .value_kind:     by_value
      - .offset:         104
        .size:           4
        .value_kind:     hidden_block_count_x
      - .offset:         108
        .size:           4
        .value_kind:     hidden_block_count_y
      - .offset:         112
        .size:           4
        .value_kind:     hidden_block_count_z
      - .offset:         116
        .size:           2
        .value_kind:     hidden_group_size_x
      - .offset:         118
        .size:           2
        .value_kind:     hidden_group_size_y
      - .offset:         120
        .size:           2
        .value_kind:     hidden_group_size_z
      - .offset:         122
        .size:           2
        .value_kind:     hidden_remainder_x
      - .offset:         124
        .size:           2
        .value_kind:     hidden_remainder_y
      - .offset:         126
        .size:           2
        .value_kind:     hidden_remainder_z
      - .offset:         144
        .size:           8
        .value_kind:     hidden_global_offset_x
      - .offset:         152
        .size:           8
        .value_kind:     hidden_global_offset_y
      - .offset:         160
        .size:           8
        .value_kind:     hidden_global_offset_z
      - .offset:         168
        .size:           2
        .value_kind:     hidden_grid_dims
    .group_segment_fixed_size: 0
    .kernarg_segment_align: 8
    .kernarg_segment_size: 360
    .language:       OpenCL C
    .language_version:
      - 2
      - 0
    .max_flat_workgroup_size: 256
    .name:           _ZL22rocblas_geam_1D_deviceILi256EPK19rocblas_complex_numIfEPKS3_PKPS1_EvmT0_T1_llS9_SA_llT2_lli
    .private_segment_fixed_size: 0
    .sgpr_count:     30
    .sgpr_spill_count: 0
    .symbol:         _ZL22rocblas_geam_1D_deviceILi256EPK19rocblas_complex_numIfEPKS3_PKPS1_EvmT0_T1_llS9_SA_llT2_lli.kd
    .uniform_work_group_size: 1
    .uses_dynamic_stack: false
    .vgpr_count:     18
    .vgpr_spill_count: 0
    .wavefront_size: 32
  - .args:
      - .offset:         0
        .size:           4
        .value_kind:     by_value
      - .offset:         4
        .size:           4
        .value_kind:     by_value
      - .offset:         8
        .size:           4
        .value_kind:     by_value
      - .offset:         12
        .size:           4
        .value_kind:     by_value
      - .offset:         16
        .size:           8
        .value_kind:     by_value
      - .address_space:  global
        .offset:         24
        .size:           8
        .value_kind:     global_buffer
      - .offset:         32
        .size:           8
        .value_kind:     by_value
      - .offset:         40
        .size:           8
        .value_kind:     by_value
      - .offset:         48
        .size:           8
        .value_kind:     by_value
      - .offset:         56
        .size:           8
        .value_kind:     by_value
      - .address_space:  global
        .offset:         64
        .size:           8
        .value_kind:     global_buffer
      - .offset:         72
        .size:           8
        .value_kind:     by_value
      - .offset:         80
        .size:           8
        .value_kind:     by_value
      - .offset:         88
        .size:           8
        .value_kind:     by_value
      - .address_space:  global
        .offset:         96
        .size:           8
        .value_kind:     global_buffer
      - .offset:         104
        .size:           8
        .value_kind:     by_value
      - .offset:         112
        .size:           8
        .value_kind:     by_value
      - .offset:         120
        .size:           8
        .value_kind:     by_value
      - .offset:         128
        .size:           4
        .value_kind:     by_value
    .group_segment_fixed_size: 0
    .kernarg_segment_align: 8
    .kernarg_segment_size: 132
    .language:       OpenCL C
    .language_version:
      - 2
      - 0
    .max_flat_workgroup_size: 256
    .name:           _ZL19rocblas_geam_deviceILi16ELi16E19rocblas_complex_numIfEPKPKS1_PKPS1_Ev18rocblas_operation_S9_iiT1_T2_lllSA_SB_lllT3_llli
    .private_segment_fixed_size: 0
    .sgpr_count:     38
    .sgpr_spill_count: 0
    .symbol:         _ZL19rocblas_geam_deviceILi16ELi16E19rocblas_complex_numIfEPKPKS1_PKPS1_Ev18rocblas_operation_S9_iiT1_T2_lllSA_SB_lllT3_llli.kd
    .uniform_work_group_size: 1
    .uses_dynamic_stack: false
    .vgpr_count:     22
    .vgpr_spill_count: 0
    .wavefront_size: 32
  - .args:
      - .offset:         0
        .size:           4
        .value_kind:     by_value
      - .offset:         4
        .size:           4
        .value_kind:     by_value
      - .offset:         8
        .size:           4
        .value_kind:     by_value
      - .offset:         12
        .size:           4
        .value_kind:     by_value
      - .address_space:  global
        .offset:         16
        .size:           8
        .value_kind:     global_buffer
      - .address_space:  global
        .offset:         24
        .size:           8
        .value_kind:     global_buffer
      - .offset:         32
        .size:           8
        .value_kind:     by_value
      - .offset:         40
        .size:           8
        .value_kind:     by_value
      - .offset:         48
        .size:           8
        .value_kind:     by_value
      - .address_space:  global
        .offset:         56
        .size:           8
        .value_kind:     global_buffer
      - .address_space:  global
        .offset:         64
        .size:           8
        .value_kind:     global_buffer
      - .offset:         72
        .size:           8
        .value_kind:     by_value
      - .offset:         80
        .size:           8
        .value_kind:     by_value
      - .offset:         88
        .size:           8
        .value_kind:     by_value
      - .address_space:  global
        .offset:         96
        .size:           8
        .value_kind:     global_buffer
      - .offset:         104
        .size:           8
        .value_kind:     by_value
      - .offset:         112
        .size:           8
        .value_kind:     by_value
      - .offset:         120
        .size:           8
        .value_kind:     by_value
      - .offset:         128
        .size:           4
        .value_kind:     by_value
    .group_segment_fixed_size: 0
    .kernarg_segment_align: 8
    .kernarg_segment_size: 132
    .language:       OpenCL C
    .language_version:
      - 2
      - 0
    .max_flat_workgroup_size: 256
    .name:           _ZL19rocblas_geam_deviceILi16ELi16EPK19rocblas_complex_numIfEPKS3_PKPS1_Ev18rocblas_operation_S9_iiT1_T2_lllSA_SB_lllT3_llli
    .private_segment_fixed_size: 0
    .sgpr_count:     34
    .sgpr_spill_count: 0
    .symbol:         _ZL19rocblas_geam_deviceILi16ELi16EPK19rocblas_complex_numIfEPKS3_PKPS1_Ev18rocblas_operation_S9_iiT1_T2_lllSA_SB_lllT3_llli.kd
    .uniform_work_group_size: 1
    .uses_dynamic_stack: false
    .vgpr_count:     24
    .vgpr_spill_count: 0
    .wavefront_size: 32
  - .args:
      - .offset:         0
        .size:           4
        .value_kind:     by_value
      - .offset:         4
        .size:           4
        .value_kind:     by_value
      - .address_space:  global
        .offset:         8
        .size:           8
        .value_kind:     global_buffer
      - .offset:         16
        .size:           8
        .value_kind:     by_value
      - .offset:         24
        .size:           8
        .value_kind:     by_value
      - .offset:         32
        .size:           8
        .value_kind:     by_value
      - .offset:         40
        .size:           4
        .value_kind:     by_value
    .group_segment_fixed_size: 0
    .kernarg_segment_align: 8
    .kernarg_segment_size: 44
    .language:       OpenCL C
    .language_version:
      - 2
      - 0
    .max_flat_workgroup_size: 256
    .name:           _ZL31rocblas_geam_zero_matrix_deviceILi16ELi16EPKP19rocblas_complex_numIdEEviiT1_llli
    .private_segment_fixed_size: 0
    .sgpr_count:     18
    .sgpr_spill_count: 0
    .symbol:         _ZL31rocblas_geam_zero_matrix_deviceILi16ELi16EPKP19rocblas_complex_numIdEEviiT1_llli.kd
    .uniform_work_group_size: 1
    .uses_dynamic_stack: false
    .vgpr_count:     10
    .vgpr_spill_count: 0
    .wavefront_size: 32
  - .args:
      - .offset:         0
        .size:           4
        .value_kind:     by_value
      - .offset:         4
        .size:           4
        .value_kind:     by_value
      - .offset:         8
        .size:           4
        .value_kind:     by_value
      - .offset:         16
        .size:           16
        .value_kind:     by_value
      - .offset:         32
        .size:           16
        .value_kind:     by_value
      - .address_space:  global
        .offset:         48
        .size:           8
        .value_kind:     global_buffer
      - .offset:         56
        .size:           8
        .value_kind:     by_value
      - .offset:         64
        .size:           8
        .value_kind:     by_value
      - .offset:         72
        .size:           8
        .value_kind:     by_value
      - .address_space:  global
        .offset:         80
        .size:           8
        .value_kind:     global_buffer
      - .offset:         88
        .size:           8
        .value_kind:     by_value
      - .offset:         96
        .size:           8
        .value_kind:     by_value
      - .offset:         104
        .size:           8
        .value_kind:     by_value
      - .offset:         112
        .size:           4
        .value_kind:     by_value
    .group_segment_fixed_size: 0
    .kernarg_segment_align: 8
    .kernarg_segment_size: 116
    .language:       OpenCL C
    .language_version:
      - 2
      - 0
    .max_flat_workgroup_size: 256
    .name:           _ZL27rocblas_geam_inplace_deviceILi16ELi16E19rocblas_complex_numIdEPKPKS1_PKPS1_Ev18rocblas_operation_iiT1_SA_T2_lllT3_llli
    .private_segment_fixed_size: 0
    .sgpr_count:     34
    .sgpr_spill_count: 0
    .symbol:         _ZL27rocblas_geam_inplace_deviceILi16ELi16E19rocblas_complex_numIdEPKPKS1_PKPS1_Ev18rocblas_operation_iiT1_SA_T2_lllT3_llli.kd
    .uniform_work_group_size: 1
    .uses_dynamic_stack: false
    .vgpr_count:     16
    .vgpr_spill_count: 0
    .wavefront_size: 32
  - .args:
      - .offset:         0
        .size:           4
        .value_kind:     by_value
      - .offset:         4
        .size:           4
        .value_kind:     by_value
      - .offset:         8
        .size:           4
        .value_kind:     by_value
      - .address_space:  global
        .offset:         16
        .size:           8
        .value_kind:     global_buffer
      - .address_space:  global
        .offset:         24
        .size:           8
        .value_kind:     global_buffer
      - .address_space:  global
        .offset:         32
        .size:           8
        .value_kind:     global_buffer
      - .offset:         40
        .size:           8
        .value_kind:     by_value
      - .offset:         48
        .size:           8
        .value_kind:     by_value
      - .offset:         56
        .size:           8
        .value_kind:     by_value
      - .address_space:  global
        .offset:         64
        .size:           8
        .value_kind:     global_buffer
      - .offset:         72
        .size:           8
        .value_kind:     by_value
      - .offset:         80
        .size:           8
        .value_kind:     by_value
      - .offset:         88
        .size:           8
        .value_kind:     by_value
      - .offset:         96
        .size:           4
        .value_kind:     by_value
    .group_segment_fixed_size: 0
    .kernarg_segment_align: 8
    .kernarg_segment_size: 100
    .language:       OpenCL C
    .language_version:
      - 2
      - 0
    .max_flat_workgroup_size: 256
    .name:           _ZL27rocblas_geam_inplace_deviceILi16ELi16EPK19rocblas_complex_numIdEPKS3_PKPS1_Ev18rocblas_operation_iiT1_SA_T2_lllT3_llli
    .private_segment_fixed_size: 0
    .sgpr_count:     26
    .sgpr_spill_count: 0
    .symbol:         _ZL27rocblas_geam_inplace_deviceILi16ELi16EPK19rocblas_complex_numIdEPKS3_PKPS1_Ev18rocblas_operation_iiT1_SA_T2_lllT3_llli.kd
    .uniform_work_group_size: 1
    .uses_dynamic_stack: false
    .vgpr_count:     24
    .vgpr_spill_count: 0
    .wavefront_size: 32
  - .args:
      - .offset:         0
        .size:           8
        .value_kind:     by_value
      - .offset:         8
        .size:           16
        .value_kind:     by_value
      - .address_space:  global
        .offset:         24
        .size:           8
        .value_kind:     global_buffer
      - .offset:         32
        .size:           8
        .value_kind:     by_value
      - .offset:         40
        .size:           8
        .value_kind:     by_value
      - .address_space:  global
        .offset:         48
        .size:           8
        .value_kind:     global_buffer
      - .offset:         56
        .size:           8
        .value_kind:     by_value
      - .offset:         64
        .size:           8
        .value_kind:     by_value
      - .offset:         72
        .size:           4
        .value_kind:     by_value
      - .offset:         80
        .size:           4
        .value_kind:     hidden_block_count_x
      - .offset:         84
        .size:           4
        .value_kind:     hidden_block_count_y
      - .offset:         88
        .size:           4
        .value_kind:     hidden_block_count_z
      - .offset:         92
        .size:           2
        .value_kind:     hidden_group_size_x
      - .offset:         94
        .size:           2
        .value_kind:     hidden_group_size_y
      - .offset:         96
        .size:           2
        .value_kind:     hidden_group_size_z
      - .offset:         98
        .size:           2
        .value_kind:     hidden_remainder_x
      - .offset:         100
        .size:           2
        .value_kind:     hidden_remainder_y
      - .offset:         102
        .size:           2
        .value_kind:     hidden_remainder_z
      - .offset:         120
        .size:           8
        .value_kind:     hidden_global_offset_x
      - .offset:         128
        .size:           8
        .value_kind:     hidden_global_offset_y
      - .offset:         136
        .size:           8
        .value_kind:     hidden_global_offset_z
      - .offset:         144
        .size:           2
        .value_kind:     hidden_grid_dims
    .group_segment_fixed_size: 0
    .kernarg_segment_align: 8
    .kernarg_segment_size: 336
    .language:       OpenCL C
    .language_version:
      - 2
      - 0
    .max_flat_workgroup_size: 256
    .name:           _ZL30rocblas_geam_1D_2matrix_deviceILi256E19rocblas_complex_numIdEPKPKS1_PKPS1_EvmT0_T1_llT2_lli
    .private_segment_fixed_size: 0
    .sgpr_count:     26
    .sgpr_spill_count: 0
    .symbol:         _ZL30rocblas_geam_1D_2matrix_deviceILi256E19rocblas_complex_numIdEPKPKS1_PKPS1_EvmT0_T1_llT2_lli.kd
    .uniform_work_group_size: 1
    .uses_dynamic_stack: false
    .vgpr_count:     10
    .vgpr_spill_count: 0
    .wavefront_size: 32
  - .args:
      - .offset:         0
        .size:           4
        .value_kind:     by_value
      - .offset:         4
        .size:           4
        .value_kind:     by_value
      - .offset:         8
        .size:           4
        .value_kind:     by_value
      - .offset:         16
        .size:           16
        .value_kind:     by_value
      - .address_space:  global
        .offset:         32
        .size:           8
        .value_kind:     global_buffer
      - .offset:         40
        .size:           8
        .value_kind:     by_value
      - .offset:         48
        .size:           8
        .value_kind:     by_value
      - .offset:         56
        .size:           8
        .value_kind:     by_value
      - .address_space:  global
        .offset:         64
        .size:           8
        .value_kind:     global_buffer
      - .offset:         72
        .size:           8
        .value_kind:     by_value
      - .offset:         80
        .size:           8
        .value_kind:     by_value
      - .offset:         88
        .size:           8
        .value_kind:     by_value
      - .offset:         96
        .size:           4
        .value_kind:     by_value
    .group_segment_fixed_size: 0
    .kernarg_segment_align: 8
    .kernarg_segment_size: 100
    .language:       OpenCL C
    .language_version:
      - 2
      - 0
    .max_flat_workgroup_size: 256
    .name:           _ZL27rocblas_geam_2matrix_deviceILi16ELi16E19rocblas_complex_numIdEPKPKS1_PKPS1_Ev18rocblas_operation_iiT1_T2_lllT3_llli
    .private_segment_fixed_size: 0
    .sgpr_count:     28
    .sgpr_spill_count: 0
    .symbol:         _ZL27rocblas_geam_2matrix_deviceILi16ELi16E19rocblas_complex_numIdEPKPKS1_PKPS1_Ev18rocblas_operation_iiT1_T2_lllT3_llli.kd
    .uniform_work_group_size: 1
    .uses_dynamic_stack: false
    .vgpr_count:     14
    .vgpr_spill_count: 0
    .wavefront_size: 32
  - .args:
      - .offset:         0
        .size:           8
        .value_kind:     by_value
      - .offset:         8
        .size:           16
        .value_kind:     by_value
      - .address_space:  global
        .offset:         24
        .size:           8
        .value_kind:     global_buffer
      - .offset:         32
        .size:           8
        .value_kind:     by_value
      - .offset:         40
        .size:           8
        .value_kind:     by_value
      - .offset:         48
        .size:           16
        .value_kind:     by_value
      - .address_space:  global
        .offset:         64
        .size:           8
        .value_kind:     global_buffer
      - .offset:         72
        .size:           8
        .value_kind:     by_value
      - .offset:         80
        .size:           8
        .value_kind:     by_value
      - .address_space:  global
        .offset:         88
        .size:           8
        .value_kind:     global_buffer
      - .offset:         96
        .size:           8
        .value_kind:     by_value
      - .offset:         104
        .size:           8
        .value_kind:     by_value
      - .offset:         112
        .size:           4
        .value_kind:     by_value
      - .offset:         120
        .size:           4
        .value_kind:     hidden_block_count_x
      - .offset:         124
        .size:           4
        .value_kind:     hidden_block_count_y
      - .offset:         128
        .size:           4
        .value_kind:     hidden_block_count_z
      - .offset:         132
        .size:           2
        .value_kind:     hidden_group_size_x
      - .offset:         134
        .size:           2
        .value_kind:     hidden_group_size_y
      - .offset:         136
        .size:           2
        .value_kind:     hidden_group_size_z
      - .offset:         138
        .size:           2
        .value_kind:     hidden_remainder_x
      - .offset:         140
        .size:           2
        .value_kind:     hidden_remainder_y
      - .offset:         142
        .size:           2
        .value_kind:     hidden_remainder_z
      - .offset:         160
        .size:           8
        .value_kind:     hidden_global_offset_x
      - .offset:         168
        .size:           8
        .value_kind:     hidden_global_offset_y
      - .offset:         176
        .size:           8
        .value_kind:     hidden_global_offset_z
      - .offset:         184
        .size:           2
        .value_kind:     hidden_grid_dims
    .group_segment_fixed_size: 0
    .kernarg_segment_align: 8
    .kernarg_segment_size: 376
    .language:       OpenCL C
    .language_version:
      - 2
      - 0
    .max_flat_workgroup_size: 256
    .name:           _ZL22rocblas_geam_1D_deviceILi256E19rocblas_complex_numIdEPKPKS1_PKPS1_EvmT0_T1_llS9_SA_llT2_lli
    .private_segment_fixed_size: 0
    .sgpr_count:     36
    .sgpr_spill_count: 0
    .symbol:         _ZL22rocblas_geam_1D_deviceILi256E19rocblas_complex_numIdEPKPKS1_PKPS1_EvmT0_T1_llS9_SA_llT2_lli.kd
    .uniform_work_group_size: 1
    .uses_dynamic_stack: false
    .vgpr_count:     16
    .vgpr_spill_count: 0
    .wavefront_size: 32
  - .args:
      - .offset:         0
        .size:           8
        .value_kind:     by_value
      - .address_space:  global
        .offset:         8
        .size:           8
        .value_kind:     global_buffer
      - .address_space:  global
        .offset:         16
        .size:           8
        .value_kind:     global_buffer
      - .offset:         24
        .size:           8
        .value_kind:     by_value
      - .offset:         32
        .size:           8
        .value_kind:     by_value
      - .address_space:  global
        .offset:         40
        .size:           8
        .value_kind:     global_buffer
      - .address_space:  global
        .offset:         48
        .size:           8
        .value_kind:     global_buffer
      - .offset:         56
        .size:           8
        .value_kind:     by_value
      - .offset:         64
        .size:           8
        .value_kind:     by_value
      - .address_space:  global
        .offset:         72
        .size:           8
        .value_kind:     global_buffer
      - .offset:         80
        .size:           8
        .value_kind:     by_value
      - .offset:         88
        .size:           8
        .value_kind:     by_value
      - .offset:         96
        .size:           4
        .value_kind:     by_value
      - .offset:         104
        .size:           4
        .value_kind:     hidden_block_count_x
      - .offset:         108
        .size:           4
        .value_kind:     hidden_block_count_y
      - .offset:         112
        .size:           4
        .value_kind:     hidden_block_count_z
      - .offset:         116
        .size:           2
        .value_kind:     hidden_group_size_x
      - .offset:         118
        .size:           2
        .value_kind:     hidden_group_size_y
      - .offset:         120
        .size:           2
        .value_kind:     hidden_group_size_z
      - .offset:         122
        .size:           2
        .value_kind:     hidden_remainder_x
      - .offset:         124
        .size:           2
        .value_kind:     hidden_remainder_y
      - .offset:         126
        .size:           2
        .value_kind:     hidden_remainder_z
      - .offset:         144
        .size:           8
        .value_kind:     hidden_global_offset_x
      - .offset:         152
        .size:           8
        .value_kind:     hidden_global_offset_y
      - .offset:         160
        .size:           8
        .value_kind:     hidden_global_offset_z
      - .offset:         168
        .size:           2
        .value_kind:     hidden_grid_dims
    .group_segment_fixed_size: 0
    .kernarg_segment_align: 8
    .kernarg_segment_size: 360
    .language:       OpenCL C
    .language_version:
      - 2
      - 0
    .max_flat_workgroup_size: 256
    .name:           _ZL22rocblas_geam_1D_deviceILi256EPK19rocblas_complex_numIdEPKS3_PKPS1_EvmT0_T1_llS9_SA_llT2_lli
    .private_segment_fixed_size: 0
    .sgpr_count:     28
    .sgpr_spill_count: 0
    .symbol:         _ZL22rocblas_geam_1D_deviceILi256EPK19rocblas_complex_numIdEPKS3_PKPS1_EvmT0_T1_llS9_SA_llT2_lli.kd
    .uniform_work_group_size: 1
    .uses_dynamic_stack: false
    .vgpr_count:     22
    .vgpr_spill_count: 0
    .wavefront_size: 32
  - .args:
      - .offset:         0
        .size:           4
        .value_kind:     by_value
      - .offset:         4
        .size:           4
        .value_kind:     by_value
      - .offset:         8
        .size:           4
        .value_kind:     by_value
      - .offset:         12
        .size:           4
        .value_kind:     by_value
      - .offset:         16
        .size:           16
        .value_kind:     by_value
      - .address_space:  global
        .offset:         32
        .size:           8
        .value_kind:     global_buffer
      - .offset:         40
        .size:           8
        .value_kind:     by_value
      - .offset:         48
        .size:           8
        .value_kind:     by_value
      - .offset:         56
        .size:           8
        .value_kind:     by_value
      - .offset:         64
        .size:           16
        .value_kind:     by_value
      - .address_space:  global
        .offset:         80
        .size:           8
        .value_kind:     global_buffer
      - .offset:         88
        .size:           8
        .value_kind:     by_value
      - .offset:         96
        .size:           8
        .value_kind:     by_value
      - .offset:         104
        .size:           8
        .value_kind:     by_value
      - .address_space:  global
        .offset:         112
        .size:           8
        .value_kind:     global_buffer
      - .offset:         120
        .size:           8
        .value_kind:     by_value
      - .offset:         128
        .size:           8
        .value_kind:     by_value
      - .offset:         136
        .size:           8
        .value_kind:     by_value
      - .offset:         144
        .size:           4
        .value_kind:     by_value
    .group_segment_fixed_size: 0
    .kernarg_segment_align: 8
    .kernarg_segment_size: 148
    .language:       OpenCL C
    .language_version:
      - 2
      - 0
    .max_flat_workgroup_size: 256
    .name:           _ZL19rocblas_geam_deviceILi16ELi16E19rocblas_complex_numIdEPKPKS1_PKPS1_Ev18rocblas_operation_S9_iiT1_T2_lllSA_SB_lllT3_llli
    .private_segment_fixed_size: 0
    .sgpr_count:     43
    .sgpr_spill_count: 0
    .symbol:         _ZL19rocblas_geam_deviceILi16ELi16E19rocblas_complex_numIdEPKPKS1_PKPS1_Ev18rocblas_operation_S9_iiT1_T2_lllSA_SB_lllT3_llli.kd
    .uniform_work_group_size: 1
    .uses_dynamic_stack: false
    .vgpr_count:     22
    .vgpr_spill_count: 0
    .wavefront_size: 32
  - .args:
      - .offset:         0
        .size:           4
        .value_kind:     by_value
      - .offset:         4
        .size:           4
        .value_kind:     by_value
      - .offset:         8
        .size:           4
        .value_kind:     by_value
      - .offset:         12
        .size:           4
        .value_kind:     by_value
      - .address_space:  global
        .offset:         16
        .size:           8
        .value_kind:     global_buffer
      - .address_space:  global
        .offset:         24
        .size:           8
        .value_kind:     global_buffer
      - .offset:         32
        .size:           8
        .value_kind:     by_value
      - .offset:         40
        .size:           8
        .value_kind:     by_value
      - .offset:         48
        .size:           8
        .value_kind:     by_value
      - .address_space:  global
        .offset:         56
        .size:           8
        .value_kind:     global_buffer
      - .address_space:  global
        .offset:         64
        .size:           8
        .value_kind:     global_buffer
      - .offset:         72
        .size:           8
        .value_kind:     by_value
      - .offset:         80
        .size:           8
        .value_kind:     by_value
      - .offset:         88
        .size:           8
        .value_kind:     by_value
      - .address_space:  global
        .offset:         96
        .size:           8
        .value_kind:     global_buffer
      - .offset:         104
        .size:           8
        .value_kind:     by_value
      - .offset:         112
        .size:           8
        .value_kind:     by_value
      - .offset:         120
        .size:           8
        .value_kind:     by_value
      - .offset:         128
        .size:           4
        .value_kind:     by_value
    .group_segment_fixed_size: 0
    .kernarg_segment_align: 8
    .kernarg_segment_size: 132
    .language:       OpenCL C
    .language_version:
      - 2
      - 0
    .max_flat_workgroup_size: 256
    .name:           _ZL19rocblas_geam_deviceILi16ELi16EPK19rocblas_complex_numIdEPKS3_PKPS1_Ev18rocblas_operation_S9_iiT1_T2_lllSA_SB_lllT3_llli
    .private_segment_fixed_size: 0
    .sgpr_count:     34
    .sgpr_spill_count: 0
    .symbol:         _ZL19rocblas_geam_deviceILi16ELi16EPK19rocblas_complex_numIdEPKS3_PKPS1_Ev18rocblas_operation_S9_iiT1_T2_lllSA_SB_lllT3_llli.kd
    .uniform_work_group_size: 1
    .uses_dynamic_stack: false
    .vgpr_count:     30
    .vgpr_spill_count: 0
    .wavefront_size: 32
amdhsa.target:   amdgcn-amd-amdhsa--gfx1250
amdhsa.version:
  - 1
  - 2
...

	.end_amdgpu_metadata
